;; amdgpu-corpus repo=ROCm/rocFFT kind=compiled arch=gfx950 opt=O3
	.text
	.amdgcn_target "amdgcn-amd-amdhsa--gfx950"
	.amdhsa_code_object_version 6
	.protected	fft_rtc_fwd_len182_factors_13_2_7_wgs_52_tpt_13_half_op_CI_CI_unitstride_sbrr_C2R_dirReg ; -- Begin function fft_rtc_fwd_len182_factors_13_2_7_wgs_52_tpt_13_half_op_CI_CI_unitstride_sbrr_C2R_dirReg
	.globl	fft_rtc_fwd_len182_factors_13_2_7_wgs_52_tpt_13_half_op_CI_CI_unitstride_sbrr_C2R_dirReg
	.p2align	8
	.type	fft_rtc_fwd_len182_factors_13_2_7_wgs_52_tpt_13_half_op_CI_CI_unitstride_sbrr_C2R_dirReg,@function
fft_rtc_fwd_len182_factors_13_2_7_wgs_52_tpt_13_half_op_CI_CI_unitstride_sbrr_C2R_dirReg: ; @fft_rtc_fwd_len182_factors_13_2_7_wgs_52_tpt_13_half_op_CI_CI_unitstride_sbrr_C2R_dirReg
; %bb.0:
	s_load_dwordx4 s[4:7], s[0:1], 0x58
	s_load_dwordx4 s[8:11], s[0:1], 0x0
	;; [unrolled: 1-line block ×3, first 2 shown]
	v_mul_u32_u24_e32 v1, 0x13b2, v0
	v_lshrrev_b32_e32 v1, 16, v1
	v_lshl_add_u32 v10, s2, 2, v1
	v_mov_b32_e32 v6, 0
	s_waitcnt lgkmcnt(0)
	v_cmp_lt_u64_e64 s[2:3], s[10:11], 2
	v_mov_b32_e32 v11, v6
	s_and_b64 vcc, exec, s[2:3]
	v_mov_b64_e32 v[8:9], 0
	s_cbranch_vccnz .LBB0_8
; %bb.1:
	s_load_dwordx2 s[2:3], s[0:1], 0x10
	s_add_u32 s16, s14, 8
	s_addc_u32 s17, s15, 0
	s_add_u32 s18, s12, 8
	s_addc_u32 s19, s13, 0
	s_waitcnt lgkmcnt(0)
	s_add_u32 s20, s2, 8
	v_mov_b64_e32 v[8:9], 0
	s_addc_u32 s21, s3, 0
	s_mov_b64 s[22:23], 1
	v_mov_b64_e32 v[2:3], v[8:9]
.LBB0_2:                                ; =>This Inner Loop Header: Depth=1
	s_load_dwordx2 s[24:25], s[20:21], 0x0
                                        ; implicit-def: $vgpr4_vgpr5
	s_waitcnt lgkmcnt(0)
	v_or_b32_e32 v7, s25, v11
	v_cmp_ne_u64_e32 vcc, 0, v[6:7]
	s_and_saveexec_b64 s[2:3], vcc
	s_xor_b64 s[26:27], exec, s[2:3]
	s_cbranch_execz .LBB0_4
; %bb.3:                                ;   in Loop: Header=BB0_2 Depth=1
	v_cvt_f32_u32_e32 v4, s24
	v_cvt_f32_u32_e32 v5, s25
	s_sub_u32 s2, 0, s24
	s_subb_u32 s3, 0, s25
	v_fmac_f32_e32 v4, 0x4f800000, v5
	v_rcp_f32_e32 v4, v4
	s_nop 0
	v_mul_f32_e32 v4, 0x5f7ffffc, v4
	v_mul_f32_e32 v5, 0x2f800000, v4
	v_trunc_f32_e32 v5, v5
	v_fmac_f32_e32 v4, 0xcf800000, v5
	v_cvt_u32_f32_e32 v7, v5
	v_cvt_u32_f32_e32 v14, v4
	v_mul_lo_u32 v4, s2, v7
	v_mul_hi_u32 v12, s2, v14
	v_mul_lo_u32 v5, s3, v14
	v_add_u32_e32 v12, v12, v4
	v_mul_lo_u32 v15, s2, v14
	v_add_u32_e32 v16, v12, v5
	v_mul_hi_u32 v4, v14, v15
	v_mul_hi_u32 v13, v14, v16
	v_mul_lo_u32 v12, v14, v16
	v_mov_b32_e32 v5, v6
	v_lshl_add_u64 v[4:5], v[4:5], 0, v[12:13]
	v_mul_hi_u32 v13, v7, v15
	v_mul_lo_u32 v15, v7, v15
	v_add_co_u32_e32 v4, vcc, v4, v15
	v_mul_hi_u32 v12, v7, v16
	s_nop 0
	v_addc_co_u32_e32 v4, vcc, v5, v13, vcc
	v_mov_b32_e32 v5, v6
	s_nop 0
	v_addc_co_u32_e32 v13, vcc, 0, v12, vcc
	v_mul_lo_u32 v12, v7, v16
	v_lshl_add_u64 v[4:5], v[4:5], 0, v[12:13]
	v_add_co_u32_e32 v14, vcc, v14, v4
	v_mul_lo_u32 v12, s2, v14
	s_nop 0
	v_addc_co_u32_e32 v7, vcc, v7, v5, vcc
	v_mul_lo_u32 v4, s2, v7
	v_mul_hi_u32 v5, s2, v14
	v_add_u32_e32 v4, v5, v4
	v_mul_lo_u32 v5, s3, v14
	v_add_u32_e32 v15, v4, v5
	v_mul_hi_u32 v17, v7, v12
	v_mul_lo_u32 v18, v7, v12
	v_mul_hi_u32 v5, v14, v15
	v_mul_lo_u32 v4, v14, v15
	v_mul_hi_u32 v12, v14, v12
	v_mov_b32_e32 v13, v6
	v_lshl_add_u64 v[4:5], v[12:13], 0, v[4:5]
	v_add_co_u32_e32 v4, vcc, v4, v18
	v_mul_hi_u32 v16, v7, v15
	s_nop 0
	v_addc_co_u32_e32 v4, vcc, v5, v17, vcc
	v_mul_lo_u32 v12, v7, v15
	s_nop 0
	v_addc_co_u32_e32 v13, vcc, 0, v16, vcc
	v_mov_b32_e32 v5, v6
	v_lshl_add_u64 v[4:5], v[4:5], 0, v[12:13]
	v_add_co_u32_e32 v14, vcc, v14, v4
	v_mul_hi_u32 v12, v10, v14
	s_nop 0
	v_addc_co_u32_e32 v7, vcc, v7, v5, vcc
	v_mad_u64_u32 v[4:5], s[2:3], v10, v7, 0
	v_mov_b32_e32 v13, v6
	v_lshl_add_u64 v[4:5], v[12:13], 0, v[4:5]
	v_mad_u64_u32 v[14:15], s[2:3], v11, v14, 0
	v_add_co_u32_e32 v4, vcc, v4, v14
	v_mad_u64_u32 v[12:13], s[2:3], v11, v7, 0
	s_nop 0
	v_addc_co_u32_e32 v4, vcc, v5, v15, vcc
	v_mov_b32_e32 v5, v6
	s_nop 0
	v_addc_co_u32_e32 v13, vcc, 0, v13, vcc
	v_lshl_add_u64 v[4:5], v[4:5], 0, v[12:13]
	v_mul_lo_u32 v7, s25, v4
	v_mul_lo_u32 v14, s24, v5
	v_mad_u64_u32 v[12:13], s[2:3], s24, v4, 0
	v_add3_u32 v7, v13, v14, v7
	v_sub_u32_e32 v13, v11, v7
	v_mov_b32_e32 v14, s25
	v_sub_co_u32_e32 v16, vcc, v10, v12
	s_nop 1
	v_subb_co_u32_e64 v12, s[2:3], v13, v14, vcc
	v_subrev_co_u32_e64 v13, s[2:3], s24, v16
	v_subb_co_u32_e32 v7, vcc, v11, v7, vcc
	s_nop 0
	v_subbrev_co_u32_e64 v12, s[2:3], 0, v12, s[2:3]
	v_cmp_le_u32_e64 s[2:3], s25, v12
	v_cmp_le_u32_e32 vcc, s25, v7
	s_nop 0
	v_cndmask_b32_e64 v14, 0, -1, s[2:3]
	v_cmp_le_u32_e64 s[2:3], s24, v13
	s_nop 1
	v_cndmask_b32_e64 v13, 0, -1, s[2:3]
	v_cmp_eq_u32_e64 s[2:3], s25, v12
	s_nop 1
	v_cndmask_b32_e64 v17, v14, v13, s[2:3]
	v_lshl_add_u64 v[12:13], v[4:5], 0, 2
	v_lshl_add_u64 v[14:15], v[4:5], 0, 1
	v_cmp_ne_u32_e64 s[2:3], 0, v17
	s_nop 1
	v_cndmask_b32_e64 v13, v15, v13, s[2:3]
	v_cndmask_b32_e64 v15, 0, -1, vcc
	v_cmp_le_u32_e32 vcc, s24, v16
	s_nop 1
	v_cndmask_b32_e64 v16, 0, -1, vcc
	v_cmp_eq_u32_e32 vcc, s25, v7
	s_nop 1
	v_cndmask_b32_e32 v7, v15, v16, vcc
	v_cmp_ne_u32_e32 vcc, 0, v7
	v_cndmask_b32_e64 v7, v14, v12, s[2:3]
	s_nop 0
	v_cndmask_b32_e32 v5, v5, v13, vcc
	v_cndmask_b32_e32 v4, v4, v7, vcc
.LBB0_4:                                ;   in Loop: Header=BB0_2 Depth=1
	s_andn2_saveexec_b64 s[2:3], s[26:27]
	s_cbranch_execz .LBB0_6
; %bb.5:                                ;   in Loop: Header=BB0_2 Depth=1
	v_cvt_f32_u32_e32 v4, s24
	s_sub_i32 s26, 0, s24
	v_rcp_iflag_f32_e32 v4, v4
	s_nop 0
	v_mul_f32_e32 v4, 0x4f7ffffe, v4
	v_cvt_u32_f32_e32 v4, v4
	v_mul_lo_u32 v5, s26, v4
	v_mul_hi_u32 v5, v4, v5
	v_add_u32_e32 v4, v4, v5
	v_mul_hi_u32 v4, v10, v4
	v_mul_lo_u32 v5, v4, s24
	v_sub_u32_e32 v5, v10, v5
	v_add_u32_e32 v7, 1, v4
	v_subrev_u32_e32 v12, s24, v5
	v_cmp_le_u32_e32 vcc, s24, v5
	s_nop 1
	v_cndmask_b32_e32 v5, v5, v12, vcc
	v_cndmask_b32_e32 v4, v4, v7, vcc
	v_add_u32_e32 v7, 1, v4
	v_cmp_le_u32_e32 vcc, s24, v5
	v_mov_b32_e32 v5, v6
	s_nop 0
	v_cndmask_b32_e32 v4, v4, v7, vcc
.LBB0_6:                                ;   in Loop: Header=BB0_2 Depth=1
	s_or_b64 exec, exec, s[2:3]
	v_mad_u64_u32 v[12:13], s[2:3], v4, s24, 0
	s_load_dwordx2 s[2:3], s[18:19], 0x0
	v_mul_lo_u32 v7, v5, s24
	v_mul_lo_u32 v14, v4, s25
	s_load_dwordx2 s[24:25], s[16:17], 0x0
	s_add_u32 s22, s22, 1
	v_add3_u32 v7, v13, v14, v7
	v_sub_co_u32_e32 v10, vcc, v10, v12
	s_addc_u32 s23, s23, 0
	s_nop 0
	v_subb_co_u32_e32 v7, vcc, v11, v7, vcc
	s_add_u32 s16, s16, 8
	s_waitcnt lgkmcnt(0)
	v_mul_lo_u32 v11, s2, v7
	v_mul_lo_u32 v12, s3, v10
	v_mad_u64_u32 v[8:9], s[2:3], s2, v10, v[8:9]
	s_addc_u32 s17, s17, 0
	v_add3_u32 v9, v12, v9, v11
	v_mul_lo_u32 v7, s24, v7
	v_mul_lo_u32 v11, s25, v10
	v_mad_u64_u32 v[2:3], s[2:3], s24, v10, v[2:3]
	s_add_u32 s18, s18, 8
	v_add3_u32 v3, v11, v3, v7
	s_addc_u32 s19, s19, 0
	v_mov_b64_e32 v[10:11], s[10:11]
	s_add_u32 s20, s20, 8
	v_cmp_ge_u64_e32 vcc, s[22:23], v[10:11]
	s_addc_u32 s21, s21, 0
	s_cbranch_vccnz .LBB0_9
; %bb.7:                                ;   in Loop: Header=BB0_2 Depth=1
	v_mov_b64_e32 v[10:11], v[4:5]
	s_branch .LBB0_2
.LBB0_8:
	v_mov_b64_e32 v[2:3], v[8:9]
	v_mov_b64_e32 v[4:5], v[10:11]
.LBB0_9:
	s_load_dwordx2 s[0:1], s[0:1], 0x28
	s_lshl_b64 s[16:17], s[10:11], 3
	s_add_u32 s10, s14, s16
	v_and_b32_e32 v1, 3, v1
	s_addc_u32 s11, s15, s17
	s_waitcnt lgkmcnt(0)
	v_cmp_gt_u64_e32 vcc, s[0:1], v[4:5]
	v_cmp_le_u64_e64 s[0:1], s[0:1], v[4:5]
                                        ; implicit-def: $vgpr6
                                        ; implicit-def: $vgpr10_vgpr11
	s_and_saveexec_b64 s[2:3], s[0:1]
	s_xor_b64 s[0:1], exec, s[2:3]
; %bb.10:
	s_mov_b32 s2, 0x13b13b14
	v_mul_hi_u32 v6, v0, s2
	v_mul_u32_u24_e32 v6, 13, v6
	v_sub_u32_e32 v6, v0, v6
	v_mov_b32_e32 v7, 0
	v_mov_b64_e32 v[10:11], v[6:7]
                                        ; implicit-def: $vgpr0
                                        ; implicit-def: $vgpr8_vgpr9
; %bb.11:
	s_or_saveexec_b64 s[2:3], s[0:1]
	s_load_dwordx2 s[10:11], s[10:11], 0x0
	v_mul_u32_u24_e32 v12, 0xb7, v1
	v_lshlrev_b32_e32 v34, 2, v12
	s_xor_b64 exec, exec, s[2:3]
	s_cbranch_execz .LBB0_15
; %bb.12:
	s_add_u32 s0, s12, s16
	s_addc_u32 s1, s13, s17
	s_load_dwordx2 s[0:1], s[0:1], 0x0
	s_mov_b32 s12, 0x13b13b14
	v_mov_b32_e32 v7, 0
	s_waitcnt lgkmcnt(0)
	v_mul_lo_u32 v1, s1, v4
	v_mul_lo_u32 v6, s0, v5
	v_mad_u64_u32 v[10:11], s[0:1], s0, v4, 0
	v_add3_u32 v11, v11, v6, v1
	v_mul_hi_u32 v1, v0, s12
	v_mul_u32_u24_e32 v1, 13, v1
	v_sub_u32_e32 v6, v0, v1
	v_lshl_add_u64 v[0:1], v[10:11], 2, s[4:5]
	v_lshl_add_u64 v[0:1], v[8:9], 2, v[0:1]
	v_lshlrev_b32_e32 v8, 2, v6
	v_mov_b32_e32 v9, v7
	v_lshl_add_u64 v[10:11], v[0:1], 0, v[8:9]
	global_load_dword v9, v[10:11], off
	global_load_dword v13, v[10:11], off offset:52
	global_load_dword v14, v[10:11], off offset:104
	;; [unrolled: 1-line block ×13, first 2 shown]
	v_cmp_eq_u32_e64 s[0:1], 12, v6
	v_add3_u32 v8, 0, v34, v8
	v_mov_b64_e32 v[10:11], v[6:7]
	s_waitcnt vmcnt(12)
	ds_write2_b32 v8, v9, v13 offset1:13
	s_waitcnt vmcnt(10)
	ds_write2_b32 v8, v14, v15 offset0:26 offset1:39
	s_waitcnt vmcnt(8)
	ds_write2_b32 v8, v16, v17 offset0:52 offset1:65
	;; [unrolled: 2-line block ×6, first 2 shown]
	s_and_saveexec_b64 s[4:5], s[0:1]
	s_cbranch_execz .LBB0_14
; %bb.13:
	global_load_dword v0, v[0:1], off offset:728
	v_mov_b32_e32 v6, 12
	v_mov_b64_e32 v[10:11], 12
	s_waitcnt vmcnt(0)
	ds_write_b32 v8, v0 offset:680
.LBB0_14:
	s_or_b64 exec, exec, s[4:5]
.LBB0_15:
	s_or_b64 exec, exec, s[2:3]
	v_lshl_add_u32 v32, v12, 2, 0
	v_lshlrev_b32_e32 v0, 2, v6
	v_add_u32_e32 v33, v32, v0
	s_waitcnt lgkmcnt(0)
	; wave barrier
	s_waitcnt lgkmcnt(0)
	v_sub_u32_e32 v8, v32, v0
	ds_read_u16 v7, v33
	ds_read_u16 v13, v8 offset:728
	v_cmp_eq_u32_e64 s[0:1], 0, v6
	v_cmp_ne_u32_e64 s[2:3], 0, v6
	v_lshl_add_u64 v[0:1], v[10:11], 2, s[8:9]
	s_waitcnt lgkmcnt(0)
	v_add_f16_e32 v9, v13, v7
	v_sub_f16_e32 v12, v7, v13
	s_and_saveexec_b64 s[4:5], s[2:3]
	s_xor_b64 s[2:3], exec, s[4:5]
	s_cbranch_execz .LBB0_17
; %bb.16:
	global_load_dword v10, v[0:1], off offset:676
	ds_read_u16 v9, v8 offset:730
	ds_read_u16 v11, v33 offset:2
	v_add_f16_e32 v12, v13, v7
	v_sub_f16_e32 v7, v7, v13
	s_waitcnt lgkmcnt(0)
	v_add_f16_e32 v13, v9, v11
	v_sub_f16_e32 v9, v11, v9
	s_waitcnt vmcnt(0)
	v_lshrrev_b32_e32 v11, 16, v10
	v_fma_f16 v14, v7, v11, v12
	v_fma_f16 v15, v13, v11, v9
	v_fma_f16 v16, -v7, v11, v12
	v_fma_f16 v11, v13, v11, -v9
	v_fma_f16 v9, -v10, v13, v14
	v_fma_f16 v12, v7, v10, v15
	v_fma_f16 v13, v10, v13, v16
	;; [unrolled: 1-line block ×3, first 2 shown]
	v_pack_b32_f16 v7, v13, v7
	ds_write_b32 v8, v7 offset:728
.LBB0_17:
	s_andn2_saveexec_b64 s[2:3], s[2:3]
	s_cbranch_execz .LBB0_19
; %bb.18:
	ds_read_b32 v7, v32 offset:364
	s_mov_b32 s4, 0xc0004000
	s_waitcnt lgkmcnt(0)
	v_pk_mul_f16 v7, v7, s4
	ds_write_b32 v32, v7 offset:364
.LBB0_19:
	s_or_b64 exec, exec, s[2:3]
	s_add_u32 s2, s8, 0x2a4
	s_addc_u32 s3, s9, 0
	v_mov_b32_e32 v7, 0
	v_lshl_add_u64 v[10:11], v[6:7], 2, s[2:3]
	global_load_dword v7, v[10:11], off offset:52
	global_load_dword v13, v[10:11], off offset:104
	;; [unrolled: 1-line block ×4, first 2 shown]
	s_mov_b32 s2, 0x5040100
	v_perm_b32 v9, v12, v9, s2
	ds_write_b32 v33, v9
	ds_read_b32 v9, v33 offset:52
	ds_read_b32 v12, v8 offset:676
	global_load_dword v16, v[10:11], off offset:260
	global_load_dword v17, v[10:11], off offset:312
	s_movk_i32 s4, 0x3b15
	s_movk_i32 s5, 0x388b
	;; [unrolled: 1-line block ×3, first 2 shown]
	s_waitcnt lgkmcnt(0)
	v_add_f16_e32 v10, v9, v12
	v_add_f16_sdwa v11, v12, v9 dst_sel:DWORD dst_unused:UNUSED_PAD src0_sel:WORD_1 src1_sel:WORD_1
	v_sub_f16_e32 v18, v9, v12
	v_sub_f16_sdwa v9, v9, v12 dst_sel:DWORD dst_unused:UNUSED_PAD src0_sel:WORD_1 src1_sel:WORD_1
	s_mov_b32 s13, 0xb5ac
	s_mov_b32 s14, 0xb9fd
	;; [unrolled: 1-line block ×3, first 2 shown]
	s_waitcnt vmcnt(5)
	v_lshrrev_b32_e32 v12, 16, v7
	v_fma_f16 v19, v18, v12, v10
	v_fma_f16 v20, v11, v12, v9
	v_fma_f16 v10, -v18, v12, v10
	v_fma_f16 v9, v11, v12, -v9
	v_fma_f16 v12, -v7, v11, v19
	v_fma_f16 v19, v18, v7, v20
	v_fma_f16 v10, v7, v11, v10
	v_fma_f16 v7, v18, v7, v9
	v_pack_b32_f16 v9, v12, v19
	v_pack_b32_f16 v7, v10, v7
	ds_write_b32 v33, v9 offset:52
	ds_write_b32 v8, v7 offset:676
	ds_read_b32 v7, v33 offset:104
	ds_read_b32 v9, v8 offset:624
	s_waitcnt vmcnt(4)
	v_lshrrev_b32_e32 v10, 16, v13
	s_waitcnt lgkmcnt(0)
	v_add_f16_e32 v11, v7, v9
	v_add_f16_sdwa v12, v9, v7 dst_sel:DWORD dst_unused:UNUSED_PAD src0_sel:WORD_1 src1_sel:WORD_1
	v_sub_f16_e32 v18, v7, v9
	v_sub_f16_sdwa v7, v7, v9 dst_sel:DWORD dst_unused:UNUSED_PAD src0_sel:WORD_1 src1_sel:WORD_1
	v_fma_f16 v9, v18, v10, v11
	v_fma_f16 v19, v12, v10, v7
	v_fma_f16 v11, -v18, v10, v11
	v_fma_f16 v7, v12, v10, -v7
	v_fma_f16 v9, -v13, v12, v9
	v_fma_f16 v10, v18, v13, v19
	v_fma_f16 v11, v13, v12, v11
	v_fma_f16 v7, v18, v13, v7
	v_pack_b32_f16 v9, v9, v10
	v_pack_b32_f16 v7, v11, v7
	ds_write_b32 v33, v9 offset:104
	ds_write_b32 v8, v7 offset:624
	ds_read_b32 v7, v33 offset:156
	ds_read_b32 v9, v8 offset:572
	s_waitcnt vmcnt(3)
	v_lshrrev_b32_e32 v10, 16, v14
	s_waitcnt lgkmcnt(0)
	v_add_f16_e32 v11, v7, v9
	v_add_f16_sdwa v12, v9, v7 dst_sel:DWORD dst_unused:UNUSED_PAD src0_sel:WORD_1 src1_sel:WORD_1
	v_sub_f16_e32 v13, v7, v9
	v_sub_f16_sdwa v7, v7, v9 dst_sel:DWORD dst_unused:UNUSED_PAD src0_sel:WORD_1 src1_sel:WORD_1
	;; [unrolled: 21-line block ×4, first 2 shown]
	v_fma_f16 v9, v13, v10, v11
	v_fma_f16 v14, v12, v10, v7
	v_fma_f16 v11, -v13, v10, v11
	v_fma_f16 v7, v12, v10, -v7
	v_fma_f16 v9, -v16, v12, v9
	v_fma_f16 v10, v13, v16, v14
	v_fma_f16 v11, v16, v12, v11
	;; [unrolled: 1-line block ×3, first 2 shown]
	v_pack_b32_f16 v9, v9, v10
	v_pack_b32_f16 v7, v11, v7
	ds_write_b32 v33, v9 offset:260
	ds_write_b32 v8, v7 offset:468
	ds_read_b32 v9, v33 offset:312
	ds_read_b32 v10, v8 offset:416
	s_waitcnt vmcnt(0)
	v_lshrrev_b32_e32 v11, 16, v17
	v_lshl_add_u32 v7, v6, 2, 0
	v_add_u32_e32 v7, v7, v34
	s_waitcnt lgkmcnt(0)
	v_add_f16_e32 v12, v9, v10
	v_add_f16_sdwa v13, v10, v9 dst_sel:DWORD dst_unused:UNUSED_PAD src0_sel:WORD_1 src1_sel:WORD_1
	v_sub_f16_e32 v14, v9, v10
	v_sub_f16_sdwa v9, v9, v10 dst_sel:DWORD dst_unused:UNUSED_PAD src0_sel:WORD_1 src1_sel:WORD_1
	v_fma_f16 v10, v14, v11, v12
	v_fma_f16 v15, v13, v11, v9
	v_fma_f16 v12, -v14, v11, v12
	v_fma_f16 v9, v13, v11, -v9
	v_fma_f16 v10, -v17, v13, v10
	v_fma_f16 v11, v14, v17, v15
	v_fma_f16 v12, v17, v13, v12
	;; [unrolled: 1-line block ×3, first 2 shown]
	v_pack_b32_f16 v10, v10, v11
	v_pack_b32_f16 v9, v12, v9
	ds_write_b32 v33, v10 offset:312
	ds_write_b32 v8, v9 offset:416
	s_waitcnt lgkmcnt(0)
	; wave barrier
	s_waitcnt lgkmcnt(0)
	s_waitcnt lgkmcnt(0)
	; wave barrier
	s_waitcnt lgkmcnt(0)
	ds_read_b32 v36, v33
	ds_read2_b32 v[8:9], v7 offset0:13 offset1:14
	ds_read2_b32 v[24:25], v7 offset0:27 offset1:28
	;; [unrolled: 1-line block ×10, first 2 shown]
	ds_read_b32 v35, v7 offset:724
	s_waitcnt lgkmcnt(7)
	v_sub_f16_e32 v30, v9, v11
	v_sub_f16_sdwa v31, v9, v11 dst_sel:DWORD dst_unused:UNUSED_PAD src0_sel:WORD_1 src1_sel:WORD_1
	v_add_f16_e32 v28, v11, v9
	v_add_f16_sdwa v29, v11, v9 dst_sel:DWORD dst_unused:UNUSED_PAD src0_sel:WORD_1 src1_sel:WORD_1
	v_mul_f16_e32 v37, 0xb770, v31
	v_mul_f16_e32 v39, 0xb770, v30
	;; [unrolled: 1-line block ×7, first 2 shown]
	s_waitcnt lgkmcnt(1)
	v_sub_f16_sdwa v60, v25, v13 dst_sel:DWORD dst_unused:UNUSED_PAD src0_sel:WORD_1 src1_sel:WORD_1
	v_fma_f16 v38, v28, s4, -v37
	v_fma_f16 v40, v29, s4, v39
	v_fma_f16 v39, v29, s4, -v39
	v_fma_f16 v44, v29, s5, v43
	;; [unrolled: 2-line block ×6, first 2 shown]
	v_fma_f16 v29, v29, s15, -v30
	v_add_f16_e32 v30, v13, v25
	v_mul_f16_e32 v61, 0xba95, v60
	v_add_f16_e32 v38, v36, v38
	v_fma_f16 v37, v28, s4, v37
	v_mul_f16_e32 v41, 0xba95, v31
	v_mul_f16_e32 v45, 0xbbf1, v31
	;; [unrolled: 1-line block ×5, first 2 shown]
	v_sub_f16_e32 v59, v25, v13
	v_fma_f16 v62, v30, s5, -v61
	v_add_f16_e32 v37, v36, v37
	v_fma_f16 v42, v28, s5, -v41
	v_fma_f16 v41, v28, s5, v41
	v_fma_f16 v46, v28, s12, -v45
	v_fma_f16 v45, v28, s12, v45
	;; [unrolled: 2-line block ×5, first 2 shown]
	v_add_f16_sdwa v31, v13, v25 dst_sel:DWORD dst_unused:UNUSED_PAD src0_sel:WORD_1 src1_sel:WORD_1
	v_add_f16_e32 v38, v62, v38
	v_mul_f16_e32 v62, 0xba95, v59
	v_fma_f16 v61, v30, s5, v61
	v_add_f16_sdwa v39, v36, v39 dst_sel:DWORD dst_unused:UNUSED_PAD src0_sel:WORD_1 src1_sel:DWORD
	v_add_f16_e32 v37, v61, v37
	v_fma_f16 v61, v31, s5, -v62
	v_add_f16_e32 v39, v61, v39
	v_mul_f16_e32 v61, 0xbb7b, v60
	v_add_f16_e32 v42, v36, v42
	v_fma_f16 v63, v31, s5, v62
	v_fma_f16 v62, v30, s13, -v61
	v_add_f16_e32 v41, v36, v41
	v_add_f16_e32 v42, v62, v42
	v_mul_f16_e32 v62, 0xbb7b, v59
	v_fma_f16 v61, v30, s13, v61
	v_add_f16_sdwa v43, v36, v43 dst_sel:DWORD dst_unused:UNUSED_PAD src0_sel:WORD_1 src1_sel:DWORD
	v_add_f16_e32 v41, v61, v41
	v_fma_f16 v61, v31, s13, -v62
	v_add_f16_sdwa v40, v36, v40 dst_sel:DWORD dst_unused:UNUSED_PAD src0_sel:WORD_1 src1_sel:DWORD
	v_add_f16_e32 v43, v61, v43
	v_mul_f16_e32 v61, 0xb3a8, v60
	v_add_f16_e32 v46, v36, v46
	v_add_f16_e32 v40, v63, v40
	v_fma_f16 v63, v31, s13, v62
	v_fma_f16 v62, v30, s15, -v61
	v_add_f16_e32 v45, v36, v45
	v_add_f16_e32 v46, v62, v46
	v_mul_f16_e32 v62, 0xb3a8, v59
	v_fma_f16 v61, v30, s15, v61
	v_add_f16_sdwa v47, v36, v47 dst_sel:DWORD dst_unused:UNUSED_PAD src0_sel:WORD_1 src1_sel:DWORD
	v_add_f16_e32 v45, v61, v45
	v_fma_f16 v61, v31, s15, -v62
	v_add_f16_sdwa v44, v36, v44 dst_sel:DWORD dst_unused:UNUSED_PAD src0_sel:WORD_1 src1_sel:DWORD
	v_add_f16_e32 v47, v61, v47
	v_mul_f16_e32 v61, 0x394e, v60
	v_add_f16_e32 v50, v36, v50
	;; [unrolled: 14-line block ×3, first 2 shown]
	v_add_f16_e32 v48, v63, v48
	v_fma_f16 v63, v31, s14, v62
	v_fma_f16 v62, v30, s12, -v61
	v_add_f16_e32 v53, v36, v53
	v_add_f16_e32 v54, v62, v54
	v_mul_f16_e32 v62, 0x3bf1, v59
	v_fma_f16 v61, v30, s12, v61
	v_add_f16_sdwa v55, v36, v55 dst_sel:DWORD dst_unused:UNUSED_PAD src0_sel:WORD_1 src1_sel:DWORD
	v_add_f16_e32 v53, v61, v53
	v_fma_f16 v61, v31, s12, -v62
	v_mul_f16_e32 v60, 0x3770, v60
	v_add_f16_e32 v57, v36, v57
	v_add_f16_e32 v28, v36, v28
	;; [unrolled: 1-line block ×3, first 2 shown]
	v_fma_f16 v61, v30, s4, -v60
	v_mul_f16_e32 v59, 0x3770, v59
	v_fma_f16 v30, v30, s4, v60
	v_add_f16_sdwa v52, v36, v52 dst_sel:DWORD dst_unused:UNUSED_PAD src0_sel:WORD_1 src1_sel:DWORD
	v_add_f16_sdwa v58, v36, v58 dst_sel:DWORD dst_unused:UNUSED_PAD src0_sel:WORD_1 src1_sel:DWORD
	;; [unrolled: 1-line block ×3, first 2 shown]
	v_add_f16_e32 v57, v61, v57
	v_fma_f16 v61, v31, s4, v59
	v_add_f16_e32 v30, v30, v28
	v_fma_f16 v28, v31, s4, -v59
	v_sub_f16_sdwa v60, v23, v15 dst_sel:DWORD dst_unused:UNUSED_PAD src0_sel:WORD_1 src1_sel:WORD_1
	v_add_f16_e32 v52, v63, v52
	v_fma_f16 v63, v31, s12, v62
	v_add_f16_e32 v58, v61, v58
	v_add_f16_e32 v31, v28, v29
	;; [unrolled: 1-line block ×3, first 2 shown]
	v_mul_f16_e32 v61, 0xbbf1, v60
	v_sub_f16_e32 v29, v23, v15
	v_fma_f16 v62, v28, s12, -v61
	v_add_f16_sdwa v59, v15, v23 dst_sel:DWORD dst_unused:UNUSED_PAD src0_sel:WORD_1 src1_sel:WORD_1
	v_add_f16_e32 v38, v62, v38
	v_mul_f16_e32 v62, 0xbbf1, v29
	v_fma_f16 v61, v28, s12, v61
	v_add_f16_e32 v37, v61, v37
	v_fma_f16 v61, v59, s12, -v62
	v_add_f16_sdwa v56, v36, v56 dst_sel:DWORD dst_unused:UNUSED_PAD src0_sel:WORD_1 src1_sel:DWORD
	v_add_f16_e32 v39, v61, v39
	v_mul_f16_e32 v61, 0xb3a8, v60
	v_add_f16_e32 v56, v63, v56
	v_fma_f16 v63, v59, s12, v62
	v_fma_f16 v62, v28, s15, -v61
	v_add_f16_e32 v42, v62, v42
	v_mul_f16_e32 v62, 0xb3a8, v29
	v_fma_f16 v61, v28, s15, v61
	v_add_f16_e32 v41, v61, v41
	v_fma_f16 v61, v59, s15, -v62
	v_add_f16_e32 v43, v61, v43
	v_mul_f16_e32 v61, 0x3b7b, v60
	v_add_f16_e32 v40, v63, v40
	v_fma_f16 v63, v59, s15, v62
	v_fma_f16 v62, v28, s13, -v61
	v_add_f16_e32 v46, v62, v46
	v_mul_f16_e32 v62, 0x3b7b, v29
	v_fma_f16 v61, v28, s13, v61
	v_add_f16_e32 v45, v61, v45
	v_fma_f16 v61, v59, s13, -v62
	;; [unrolled: 10-line block ×4, first 2 shown]
	v_mul_f16_e32 v60, 0xb94e, v60
	v_add_f16_e32 v55, v61, v55
	v_fma_f16 v61, v28, s14, -v60
	v_add_f16_e32 v57, v61, v57
	v_mul_f16_e32 v61, 0xb94e, v29
	v_fma_f16 v29, v59, s14, v61
	v_add_f16_e32 v58, v29, v58
	v_fma_f16 v60, v28, s14, v60
	ds_read2_b32 v[28:29], v7 offset0:125 offset1:126
	v_add_f16_e32 v60, v60, v30
	v_fma_f16 v30, v59, s14, -v61
	v_add_f16_e32 v52, v63, v52
	v_fma_f16 v63, v59, s5, v62
	v_add_f16_e32 v59, v30, v31
	ds_read2_b32 v[30:31], v7 offset0:111 offset1:112
	s_waitcnt lgkmcnt(1)
	v_sub_f16_sdwa v64, v27, v29 dst_sel:DWORD dst_unused:UNUSED_PAD src0_sel:WORD_1 src1_sel:WORD_1
	v_add_f16_e32 v61, v29, v27
	v_mul_f16_e32 v65, 0xbb7b, v64
	v_add_f16_e32 v56, v63, v56
	v_sub_f16_e32 v63, v27, v29
	v_fma_f16 v66, v61, s13, -v65
	v_add_f16_sdwa v62, v29, v27 dst_sel:DWORD dst_unused:UNUSED_PAD src0_sel:WORD_1 src1_sel:WORD_1
	v_add_f16_e32 v38, v66, v38
	v_mul_f16_e32 v66, 0xbb7b, v63
	v_fma_f16 v65, v61, s13, v65
	v_add_f16_e32 v37, v65, v37
	v_fma_f16 v65, v62, s13, -v66
	v_add_f16_e32 v39, v65, v39
	v_mul_f16_e32 v65, 0x394e, v64
	v_fma_f16 v67, v62, s13, v66
	v_fma_f16 v66, v61, s14, -v65
	v_add_f16_e32 v42, v66, v42
	v_mul_f16_e32 v66, 0x394e, v63
	v_fma_f16 v65, v61, s14, v65
	v_add_f16_e32 v41, v65, v41
	v_fma_f16 v65, v62, s14, -v66
	v_add_f16_e32 v43, v65, v43
	v_mul_f16_e32 v65, 0x3770, v64
	v_add_f16_e32 v40, v67, v40
	v_fma_f16 v67, v62, s14, v66
	v_fma_f16 v66, v61, s4, -v65
	v_add_f16_e32 v46, v66, v46
	v_mul_f16_e32 v66, 0x3770, v63
	v_fma_f16 v65, v61, s4, v65
	v_add_f16_e32 v45, v65, v45
	v_fma_f16 v65, v62, s4, -v66
	v_add_f16_e32 v47, v65, v47
	v_mul_f16_e32 v65, 0xbbf1, v64
	v_add_f16_e32 v44, v67, v44
	;; [unrolled: 10-line block ×3, first 2 shown]
	v_fma_f16 v67, v62, s12, v66
	v_fma_f16 v66, v61, s15, -v65
	v_add_f16_e32 v54, v66, v54
	v_mul_f16_e32 v66, 0x33a8, v63
	v_fma_f16 v65, v61, s15, v65
	v_add_f16_e32 v53, v65, v53
	v_fma_f16 v65, v62, s15, -v66
	v_mul_f16_e32 v64, 0x3a95, v64
	v_add_f16_e32 v55, v65, v55
	v_fma_f16 v65, v61, s5, -v64
	v_mul_f16_e32 v63, 0x3a95, v63
	v_fma_f16 v61, v61, s5, v64
	v_add_f16_e32 v57, v65, v57
	v_fma_f16 v65, v62, s5, v63
	v_add_f16_e32 v60, v61, v60
	v_fma_f16 v61, v62, s5, -v63
	s_waitcnt lgkmcnt(0)
	v_sub_f16_sdwa v63, v21, v31 dst_sel:DWORD dst_unused:UNUSED_PAD src0_sel:WORD_1 src1_sel:WORD_1
	v_add_f16_e32 v59, v61, v59
	v_add_f16_e32 v61, v31, v21
	v_mul_f16_e32 v64, 0xb94e, v63
	v_add_f16_e32 v58, v65, v58
	v_fma_f16 v65, v61, s14, -v64
	v_add_f16_e32 v38, v65, v38
	v_sub_f16_e32 v65, v21, v31
	v_add_f16_e32 v52, v67, v52
	v_fma_f16 v67, v62, s15, v66
	v_add_f16_sdwa v62, v31, v21 dst_sel:DWORD dst_unused:UNUSED_PAD src0_sel:WORD_1 src1_sel:WORD_1
	v_mul_f16_e32 v66, 0xb94e, v65
	v_fma_f16 v64, v61, s14, v64
	v_add_f16_e32 v37, v64, v37
	v_fma_f16 v64, v62, s14, -v66
	v_add_f16_e32 v39, v64, v39
	v_mul_f16_e32 v64, 0x3bf1, v63
	v_add_f16_e32 v56, v67, v56
	v_fma_f16 v67, v62, s14, v66
	v_fma_f16 v66, v61, s12, -v64
	v_add_f16_e32 v42, v66, v42
	v_mul_f16_e32 v66, 0x3bf1, v65
	v_fma_f16 v64, v61, s12, v64
	v_add_f16_e32 v41, v64, v41
	v_fma_f16 v64, v62, s12, -v66
	v_add_f16_e32 v43, v64, v43
	v_mul_f16_e32 v64, 0xba95, v63
	v_add_f16_e32 v40, v67, v40
	v_fma_f16 v67, v62, s12, v66
	v_fma_f16 v66, v61, s5, -v64
	v_add_f16_e32 v46, v66, v46
	v_mul_f16_e32 v66, 0xba95, v65
	v_fma_f16 v64, v61, s5, v64
	v_add_f16_e32 v45, v64, v45
	v_fma_f16 v64, v62, s5, -v66
	v_add_f16_e32 v47, v64, v47
	v_mul_f16_e32 v64, 0x33a8, v63
	v_add_f16_e32 v44, v67, v44
	v_fma_f16 v67, v62, s5, v66
	v_fma_f16 v66, v61, s15, -v64
	v_add_f16_e32 v50, v66, v50
	v_mul_f16_e32 v66, 0x33a8, v65
	v_fma_f16 v64, v61, s15, v64
	v_add_f16_e32 v49, v64, v49
	v_fma_f16 v64, v62, s15, -v66
	v_add_f16_e32 v51, v64, v51
	v_mul_f16_e32 v64, 0x3770, v63
	v_add_f16_e32 v48, v67, v48
	v_fma_f16 v67, v62, s15, v66
	v_fma_f16 v66, v61, s4, -v64
	v_add_f16_e32 v54, v66, v54
	v_mul_f16_e32 v66, 0x3770, v65
	v_fma_f16 v64, v61, s4, v64
	v_add_f16_e32 v53, v64, v53
	v_fma_f16 v64, v62, s4, -v66
	v_mul_f16_e32 v63, 0xbb7b, v63
	v_add_f16_e32 v55, v64, v55
	v_fma_f16 v64, v61, s13, -v63
	v_add_f16_e32 v57, v64, v57
	v_mul_f16_e32 v64, 0xbb7b, v65
	v_fma_f16 v61, v61, s13, v63
	v_add_f16_e32 v60, v61, v60
	v_fma_f16 v61, v62, s13, -v64
	v_sub_f16_sdwa v63, v19, v17 dst_sel:DWORD dst_unused:UNUSED_PAD src0_sel:WORD_1 src1_sel:WORD_1
	v_fma_f16 v65, v62, s13, v64
	v_add_f16_e32 v59, v61, v59
	v_add_f16_e32 v61, v17, v19
	v_mul_f16_e32 v64, 0xb3a8, v63
	v_add_f16_e32 v58, v65, v58
	v_fma_f16 v65, v61, s15, -v64
	v_add_f16_e32 v38, v65, v38
	v_sub_f16_e32 v65, v19, v17
	v_add_f16_e32 v52, v67, v52
	v_fma_f16 v67, v62, s4, v66
	v_add_f16_sdwa v62, v17, v19 dst_sel:DWORD dst_unused:UNUSED_PAD src0_sel:WORD_1 src1_sel:WORD_1
	v_mul_f16_e32 v66, 0xb3a8, v65
	v_fma_f16 v64, v61, s15, v64
	v_add_f16_e32 v37, v64, v37
	v_fma_f16 v64, v62, s15, -v66
	v_add_f16_e32 v39, v64, v39
	v_mul_f16_e32 v64, 0x3770, v63
	v_add_f16_e32 v56, v67, v56
	v_fma_f16 v67, v62, s15, v66
	v_fma_f16 v66, v61, s4, -v64
	v_add_f16_e32 v42, v66, v42
	v_mul_f16_e32 v66, 0x3770, v65
	v_fma_f16 v64, v61, s4, v64
	v_add_f16_e32 v41, v64, v41
	v_fma_f16 v64, v62, s4, -v66
	v_add_f16_e32 v43, v64, v43
	v_mul_f16_e32 v64, 0xb94e, v63
	v_add_f16_e32 v40, v67, v40
	v_fma_f16 v67, v62, s4, v66
	v_fma_f16 v66, v61, s14, -v64
	v_add_f16_e32 v46, v66, v46
	;; [unrolled: 10-line block ×4, first 2 shown]
	v_mul_f16_e32 v66, 0xbb7b, v65
	v_fma_f16 v64, v61, s13, v64
	v_add_f16_e32 v53, v64, v53
	v_fma_f16 v64, v62, s13, -v66
	v_mul_f16_e32 v63, 0x3bf1, v63
	v_add_f16_e32 v55, v64, v55
	v_fma_f16 v64, v61, s12, -v63
	v_add_f16_e32 v57, v64, v57
	v_mul_f16_e32 v64, 0x3bf1, v65
	v_fma_f16 v65, v62, s12, v64
	v_add_f16_e32 v58, v65, v58
	v_add_f16_e32 v65, v36, v9
	v_add_f16_sdwa v9, v36, v9 dst_sel:DWORD dst_unused:UNUSED_PAD src0_sel:WORD_1 src1_sel:WORD_1
	v_add_f16_e32 v36, v65, v25
	v_add_f16_sdwa v9, v9, v25 dst_sel:DWORD dst_unused:UNUSED_PAD src0_sel:DWORD src1_sel:WORD_1
	v_add_f16_e32 v25, v36, v23
	v_add_f16_sdwa v9, v9, v23 dst_sel:DWORD dst_unused:UNUSED_PAD src0_sel:DWORD src1_sel:WORD_1
	;; [unrolled: 2-line block ×11, first 2 shown]
	v_mul_u32_u24_e32 v17, 52, v6
	v_add_f16_e32 v52, v67, v52
	v_fma_f16 v67, v62, s13, v66
	v_add3_u32 v17, 0, v17, v34
	v_pack_b32_f16 v19, v38, v40
	v_pack_b32_f16 v9, v13, v9
	v_add_f16_e32 v56, v67, v56
	v_fma_f16 v11, v61, s12, v63
	v_fma_f16 v15, v62, s12, -v64
	s_waitcnt lgkmcnt(0)
	; wave barrier
	ds_write2_b32 v17, v9, v19 offset1:1
	v_pack_b32_f16 v9, v46, v48
	v_pack_b32_f16 v13, v42, v44
	v_add_f16_e32 v11, v11, v60
	v_add_f16_e32 v15, v15, v59
	ds_write2_b32 v17, v13, v9 offset0:2 offset1:3
	v_pack_b32_f16 v9, v54, v56
	v_pack_b32_f16 v13, v50, v52
	ds_write2_b32 v17, v13, v9 offset0:4 offset1:5
	v_pack_b32_f16 v9, v11, v15
	v_pack_b32_f16 v11, v57, v58
	ds_write2_b32 v17, v11, v9 offset0:6 offset1:7
	v_pack_b32_f16 v9, v49, v51
	v_pack_b32_f16 v11, v53, v55
	ds_write2_b32 v17, v11, v9 offset0:8 offset1:9
	v_pack_b32_f16 v9, v41, v43
	v_pack_b32_f16 v11, v45, v47
	ds_write2_b32 v17, v11, v9 offset0:10 offset1:11
	v_pack_b32_f16 v9, v37, v39
	ds_write_b32 v17, v9 offset:48
	s_and_saveexec_b64 s[2:3], s[0:1]
	s_cbranch_execz .LBB0_21
; %bb.20:
	v_sub_f16_e32 v38, v24, v35
	v_mul_f16_e32 v39, 0xb3a8, v38
	v_add_f16_sdwa v11, v35, v24 dst_sel:DWORD dst_unused:UNUSED_PAD src0_sel:WORD_1 src1_sel:WORD_1
	v_sub_f16_e32 v40, v22, v10
	v_fma_f16 v9, v11, s15, v39
	v_mul_f16_e32 v41, 0x3770, v40
	v_add_f16_sdwa v13, v10, v22 dst_sel:DWORD dst_unused:UNUSED_PAD src0_sel:WORD_1 src1_sel:WORD_1
	v_add_f16_sdwa v9, v8, v9 dst_sel:DWORD dst_unused:UNUSED_PAD src0_sel:WORD_1 src1_sel:DWORD
	v_fma_f16 v15, v13, s4, v41
	v_sub_f16_e32 v42, v26, v12
	v_add_f16_e32 v9, v15, v9
	v_mul_f16_e32 v43, 0xb94e, v42
	v_add_f16_sdwa v15, v12, v26 dst_sel:DWORD dst_unused:UNUSED_PAD src0_sel:WORD_1 src1_sel:WORD_1
	v_fma_f16 v17, v15, s14, v43
	v_sub_f16_e32 v44, v20, v14
	v_add_f16_e32 v9, v17, v9
	v_mul_f16_e32 v45, 0x3a95, v44
	v_add_f16_sdwa v17, v14, v20 dst_sel:DWORD dst_unused:UNUSED_PAD src0_sel:WORD_1 src1_sel:WORD_1
	v_fma_f16 v19, v17, s5, v45
	v_sub_f16_e32 v46, v18, v28
	v_add_f16_e32 v9, v19, v9
	v_mul_f16_e32 v47, 0xbb7b, v46
	v_add_f16_sdwa v19, v28, v18 dst_sel:DWORD dst_unused:UNUSED_PAD src0_sel:WORD_1 src1_sel:WORD_1
	v_fma_f16 v21, v19, s13, v47
	v_sub_f16_e32 v48, v16, v30
	v_add_f16_e32 v9, v21, v9
	v_mul_f16_e32 v49, 0x3bf1, v48
	v_add_f16_sdwa v21, v30, v16 dst_sel:DWORD dst_unused:UNUSED_PAD src0_sel:WORD_1 src1_sel:WORD_1
	v_fma_f16 v23, v21, s12, v49
	v_sub_f16_sdwa v50, v24, v35 dst_sel:DWORD dst_unused:UNUSED_PAD src0_sel:WORD_1 src1_sel:WORD_1
	v_add_f16_e32 v9, v23, v9
	v_add_f16_e32 v23, v35, v24
	v_mul_f16_e32 v51, 0xb3a8, v50
	v_fma_f16 v25, v23, s15, -v51
	v_sub_f16_sdwa v52, v22, v10 dst_sel:DWORD dst_unused:UNUSED_PAD src0_sel:WORD_1 src1_sel:WORD_1
	v_add_f16_e32 v27, v8, v25
	v_add_f16_e32 v25, v10, v22
	v_mul_f16_e32 v53, 0x3770, v52
	v_fma_f16 v29, v25, s4, -v53
	;; [unrolled: 5-line block ×6, first 2 shown]
	v_add_f16_e32 v29, v62, v29
	v_mul_f16_e32 v62, 0xb94e, v38
	v_fma_f16 v63, v11, s14, v62
	v_mul_f16_e32 v64, 0x3bf1, v40
	v_add_f16_sdwa v63, v8, v63 dst_sel:DWORD dst_unused:UNUSED_PAD src0_sel:WORD_1 src1_sel:DWORD
	v_fma_f16 v65, v13, s12, v64
	v_add_f16_e32 v63, v65, v63
	v_mul_f16_e32 v65, 0xba95, v42
	v_fma_f16 v66, v15, s5, v65
	v_add_f16_e32 v63, v66, v63
	v_add_f16_e32 v66, v8, v24
	v_add_f16_sdwa v24, v8, v24 dst_sel:DWORD dst_unused:UNUSED_PAD src0_sel:WORD_1 src1_sel:WORD_1
	v_add_f16_e32 v66, v66, v22
	v_add_f16_sdwa v22, v24, v22 dst_sel:DWORD dst_unused:UNUSED_PAD src0_sel:DWORD src1_sel:WORD_1
	v_mul_f16_e32 v24, 0x33a8, v44
	v_fma_f16 v67, v17, s15, v24
	v_add_f16_e32 v63, v67, v63
	v_mul_f16_e32 v67, 0x3770, v46
	v_fma_f16 v68, v19, s4, v67
	v_add_f16_e32 v66, v66, v26
	v_add_f16_sdwa v22, v22, v26 dst_sel:DWORD dst_unused:UNUSED_PAD src0_sel:DWORD src1_sel:WORD_1
	v_mul_f16_e32 v26, 0xbb7b, v48
	v_add_f16_e32 v63, v68, v63
	v_fma_f16 v68, v21, s13, v26
	v_add_f16_e32 v63, v68, v63
	v_mul_f16_e32 v68, 0xb94e, v50
	v_add_f16_e32 v66, v66, v20
	v_add_f16_sdwa v20, v22, v20 dst_sel:DWORD dst_unused:UNUSED_PAD src0_sel:DWORD src1_sel:WORD_1
	v_fma_f16 v22, v23, s14, -v68
	v_mul_f16_e32 v69, 0x3bf1, v52
	v_add_f16_e32 v22, v8, v22
	v_fma_f16 v70, v25, s12, -v69
	v_add_f16_e32 v66, v66, v18
	v_add_f16_sdwa v18, v20, v18 dst_sel:DWORD dst_unused:UNUSED_PAD src0_sel:DWORD src1_sel:WORD_1
	v_mul_f16_e32 v20, 0xba95, v54
	v_add_f16_e32 v22, v70, v22
	v_fma_f16 v70, v27, s5, -v20
	v_add_f16_e32 v22, v70, v22
	v_mul_f16_e32 v70, 0x33a8, v56
	v_fma_f16 v71, v31, s15, -v70
	v_add_f16_e32 v66, v66, v16
	v_add_f16_sdwa v16, v18, v16 dst_sel:DWORD dst_unused:UNUSED_PAD src0_sel:DWORD src1_sel:WORD_1
	v_mul_f16_e32 v18, 0x3770, v58
	v_add_f16_e32 v22, v71, v22
	v_fma_f16 v71, v36, s4, -v18
	v_add_f16_e32 v22, v71, v22
	v_mul_f16_e32 v71, 0xbb7b, v60
	v_fma_f16 v72, v37, s13, -v71
	v_add_f16_e32 v66, v66, v30
	v_add_f16_sdwa v16, v16, v30 dst_sel:DWORD dst_unused:UNUSED_PAD src0_sel:DWORD src1_sel:WORD_1
	v_mul_f16_e32 v30, 0xbb7b, v38
	v_add_f16_e32 v22, v72, v22
	v_fma_f16 v72, v11, s13, v30
	v_add_f16_e32 v66, v66, v28
	v_add_f16_sdwa v16, v16, v28 dst_sel:DWORD dst_unused:UNUSED_PAD src0_sel:DWORD src1_sel:WORD_1
	v_mul_f16_e32 v28, 0x394e, v40
	v_add_f16_sdwa v72, v8, v72 dst_sel:DWORD dst_unused:UNUSED_PAD src0_sel:WORD_1 src1_sel:DWORD
	v_fma_f16 v73, v13, s14, v28
	v_add_f16_e32 v72, v73, v72
	v_mul_f16_e32 v73, 0x3770, v42
	v_fma_f16 v74, v15, s4, v73
	v_add_f16_e32 v66, v66, v14
	v_add_f16_sdwa v14, v16, v14 dst_sel:DWORD dst_unused:UNUSED_PAD src0_sel:DWORD src1_sel:WORD_1
	v_mul_f16_e32 v16, 0xbbf1, v44
	v_add_f16_e32 v72, v74, v72
	v_fma_f16 v74, v17, s12, v16
	v_add_f16_e32 v72, v74, v72
	v_mul_f16_e32 v74, 0x33a8, v46
	v_fma_f16 v75, v19, s15, v74
	v_add_f16_e32 v66, v66, v12
	v_add_f16_sdwa v12, v14, v12 dst_sel:DWORD dst_unused:UNUSED_PAD src0_sel:DWORD src1_sel:WORD_1
	v_mul_f16_e32 v14, 0x3a95, v48
	v_add_f16_e32 v72, v75, v72
	v_fma_f16 v75, v21, s5, v14
	v_add_f16_e32 v72, v75, v72
	v_mul_f16_e32 v75, 0xbb7b, v50
	v_add_f16_e32 v66, v66, v10
	v_add_f16_sdwa v10, v12, v10 dst_sel:DWORD dst_unused:UNUSED_PAD src0_sel:DWORD src1_sel:WORD_1
	v_fma_f16 v12, v23, s13, -v75
	v_mul_f16_e32 v76, 0x394e, v52
	v_add_f16_e32 v12, v8, v12
	v_fma_f16 v77, v25, s14, -v76
	v_add_f16_e32 v12, v77, v12
	v_mul_f16_e32 v77, 0x3770, v54
	v_fma_f16 v78, v27, s4, -v77
	v_add_f16_e32 v12, v78, v12
	v_mul_f16_e32 v78, 0xbbf1, v56
	;; [unrolled: 3-line block ×3, first 2 shown]
	v_fma_f16 v80, v36, s15, -v79
	v_add_f16_e32 v66, v66, v35
	v_add_f16_sdwa v10, v10, v35 dst_sel:DWORD dst_unused:UNUSED_PAD src0_sel:DWORD src1_sel:WORD_1
	v_fma_f16 v35, v11, s15, -v39
	v_add_f16_e32 v12, v80, v12
	v_mul_f16_e32 v80, 0x3a95, v60
	v_add_f16_sdwa v35, v8, v35 dst_sel:DWORD dst_unused:UNUSED_PAD src0_sel:WORD_1 src1_sel:DWORD
	v_fma_f16 v39, v13, s4, -v41
	v_fma_f16 v81, v37, s5, -v80
	v_add_f16_e32 v35, v39, v35
	v_fma_f16 v39, v15, s14, -v43
	v_add_f16_e32 v12, v81, v12
	v_mul_f16_e32 v81, 0xbbf1, v38
	v_add_f16_e32 v35, v39, v35
	v_fma_f16 v39, v17, s5, -v45
	v_fma_f16 v82, v11, s12, v81
	v_mul_f16_e32 v83, 0xb3a8, v40
	v_add_f16_e32 v35, v39, v35
	v_fma_f16 v39, v19, s13, -v47
	v_add_f16_sdwa v82, v8, v82 dst_sel:DWORD dst_unused:UNUSED_PAD src0_sel:WORD_1 src1_sel:DWORD
	v_fma_f16 v84, v13, s15, v83
	v_add_f16_e32 v35, v39, v35
	v_fma_f16 v39, v21, s12, -v49
	v_add_f16_e32 v82, v84, v82
	v_mul_f16_e32 v84, 0x3b7b, v42
	v_add_f16_e32 v35, v39, v35
	v_fma_f16 v39, v23, s15, v51
	v_fma_f16 v85, v15, s13, v84
	v_add_f16_e32 v39, v8, v39
	v_fma_f16 v41, v25, s4, v53
	v_add_f16_e32 v82, v85, v82
	v_mul_f16_e32 v85, 0x3770, v44
	v_add_f16_e32 v39, v41, v39
	v_fma_f16 v41, v27, s14, v55
	v_fma_f16 v86, v17, s4, v85
	v_add_f16_e32 v39, v41, v39
	v_fma_f16 v41, v31, s5, v57
	;; [unrolled: 7-line block ×3, first 2 shown]
	v_add_f16_e32 v82, v87, v82
	v_mul_f16_e32 v87, 0xb94e, v48
	v_add_f16_e32 v39, v41, v39
	v_fma_f16 v41, v11, s14, -v62
	v_fma_f16 v88, v21, s14, v87
	v_add_f16_sdwa v41, v8, v41 dst_sel:DWORD dst_unused:UNUSED_PAD src0_sel:WORD_1 src1_sel:DWORD
	v_fma_f16 v43, v13, s12, -v64
	v_add_f16_e32 v82, v88, v82
	v_mul_f16_e32 v88, 0xbbf1, v50
	v_add_f16_e32 v41, v43, v41
	v_fma_f16 v43, v15, s5, -v65
	v_fma_f16 v89, v23, s12, -v88
	v_mul_f16_e32 v90, 0xb3a8, v52
	v_add_f16_e32 v41, v43, v41
	v_fma_f16 v24, v17, s15, -v24
	v_add_f16_e32 v89, v8, v89
	v_fma_f16 v91, v25, s15, -v90
	;; [unrolled: 2-line block ×3, first 2 shown]
	v_add_f16_e32 v89, v91, v89
	v_mul_f16_e32 v91, 0x3b7b, v54
	v_add_f16_e32 v24, v41, v24
	v_fma_f16 v26, v21, s13, -v26
	v_fma_f16 v92, v27, s13, -v91
	v_add_f16_e32 v24, v26, v24
	v_fma_f16 v26, v23, s14, v68
	v_add_f16_e32 v89, v92, v89
	v_mul_f16_e32 v92, 0x3770, v56
	v_add_f16_e32 v26, v8, v26
	v_fma_f16 v41, v25, s12, v69
	v_fma_f16 v93, v31, s4, -v92
	v_add_f16_e32 v26, v41, v26
	v_fma_f16 v20, v27, s5, v20
	v_add_f16_e32 v89, v93, v89
	v_mul_f16_e32 v93, 0xba95, v58
	v_add_f16_e32 v20, v20, v26
	v_fma_f16 v26, v31, s15, v70
	;; [unrolled: 7-line block ×3, first 2 shown]
	v_fma_f16 v95, v37, s14, -v94
	v_add_f16_e32 v18, v20, v18
	v_fma_f16 v20, v11, s13, -v30
	v_add_f16_e32 v89, v95, v89
	v_mul_f16_e32 v95, 0xba95, v38
	v_add_f16_sdwa v20, v8, v20 dst_sel:DWORD dst_unused:UNUSED_PAD src0_sel:WORD_1 src1_sel:DWORD
	v_fma_f16 v26, v13, s14, -v28
	v_fma_f16 v96, v11, s5, v95
	v_mul_f16_e32 v97, 0xbb7b, v40
	v_add_f16_e32 v20, v26, v20
	v_fma_f16 v26, v15, s4, -v73
	v_add_f16_sdwa v96, v8, v96 dst_sel:DWORD dst_unused:UNUSED_PAD src0_sel:WORD_1 src1_sel:DWORD
	v_fma_f16 v98, v13, s13, v97
	v_add_f16_e32 v20, v26, v20
	v_fma_f16 v16, v17, s12, -v16
	v_add_f16_e32 v96, v98, v96
	v_mul_f16_e32 v98, 0xb3a8, v42
	v_add_f16_e32 v16, v16, v20
	v_fma_f16 v20, v19, s15, -v74
	v_fma_f16 v99, v15, s15, v98
	v_add_f16_e32 v16, v20, v16
	v_fma_f16 v14, v21, s5, -v14
	v_add_f16_e32 v96, v99, v96
	v_mul_f16_e32 v99, 0x394e, v44
	v_add_f16_e32 v14, v14, v16
	v_fma_f16 v16, v23, s13, v75
	v_fma_f16 v100, v17, s14, v99
	v_add_f16_e32 v16, v8, v16
	v_fma_f16 v20, v25, s14, v76
	v_add_f16_e32 v96, v100, v96
	v_mul_f16_e32 v100, 0x3bf1, v46
	v_add_f16_e32 v16, v20, v16
	v_fma_f16 v20, v27, s4, v77
	v_fma_f16 v101, v19, s12, v100
	v_add_f16_e32 v16, v20, v16
	v_fma_f16 v20, v31, s12, v78
	;; [unrolled: 7-line block ×3, first 2 shown]
	v_add_f16_e32 v96, v102, v96
	v_mul_f16_e32 v102, 0xba95, v50
	v_add_f16_e32 v16, v20, v16
	v_fma_f16 v20, v11, s12, -v81
	v_fma_f16 v103, v23, s5, -v102
	v_mul_f16_e32 v104, 0xbb7b, v52
	v_add_f16_sdwa v20, v8, v20 dst_sel:DWORD dst_unused:UNUSED_PAD src0_sel:WORD_1 src1_sel:DWORD
	v_fma_f16 v26, v13, s15, -v83
	v_add_f16_e32 v103, v8, v103
	v_fma_f16 v105, v25, s13, -v104
	v_add_f16_e32 v20, v26, v20
	;; [unrolled: 2-line block ×3, first 2 shown]
	v_mul_f16_e32 v105, 0xb3a8, v54
	v_add_f16_e32 v20, v26, v20
	v_fma_f16 v26, v17, s4, -v85
	v_fma_f16 v106, v27, s15, -v105
	v_add_f16_e32 v20, v26, v20
	v_fma_f16 v26, v19, s5, -v86
	v_add_f16_e32 v103, v106, v103
	v_mul_f16_e32 v106, 0x394e, v56
	v_add_f16_e32 v20, v26, v20
	v_fma_f16 v26, v21, s14, -v87
	v_fma_f16 v107, v31, s14, -v106
	v_add_f16_e32 v20, v26, v20
	v_fma_f16 v26, v23, s12, v88
	v_add_f16_e32 v103, v107, v103
	v_mul_f16_e32 v107, 0x3bf1, v58
	v_add_f16_e32 v26, v8, v26
	v_fma_f16 v28, v25, s15, v90
	v_fma_f16 v108, v36, s12, -v107
	v_add_f16_e32 v26, v28, v26
	v_fma_f16 v28, v27, s13, v91
	v_add_f16_e32 v103, v108, v103
	v_mul_f16_e32 v108, 0x3770, v60
	v_add_f16_e32 v26, v28, v26
	v_fma_f16 v28, v31, s4, v92
	v_fma_f16 v109, v37, s4, -v108
	v_mul_f16_e32 v38, 0xb770, v38
	v_add_f16_e32 v26, v28, v26
	v_fma_f16 v28, v36, s5, v93
	v_add_f16_e32 v103, v109, v103
	v_fma_f16 v109, v11, s4, v38
	v_mul_f16_e32 v40, 0xba95, v40
	v_add_f16_e32 v26, v28, v26
	v_fma_f16 v28, v37, s14, v94
	v_add_f16_sdwa v109, v8, v109 dst_sel:DWORD dst_unused:UNUSED_PAD src0_sel:WORD_1 src1_sel:DWORD
	v_fma_f16 v110, v13, s5, v40
	v_mul_f16_e32 v42, 0xbbf1, v42
	v_add_f16_e32 v26, v28, v26
	v_fma_f16 v28, v11, s5, -v95
	v_fma_f16 v11, v11, s4, -v38
	v_add_f16_e32 v109, v110, v109
	v_fma_f16 v110, v15, s12, v42
	v_mul_f16_e32 v44, 0xbb7b, v44
	v_add_f16_sdwa v28, v8, v28 dst_sel:DWORD dst_unused:UNUSED_PAD src0_sel:WORD_1 src1_sel:DWORD
	v_fma_f16 v30, v13, s13, -v97
	v_add_f16_sdwa v11, v8, v11 dst_sel:DWORD dst_unused:UNUSED_PAD src0_sel:WORD_1 src1_sel:DWORD
	v_fma_f16 v13, v13, s5, -v40
	v_add_f16_e32 v109, v110, v109
	v_fma_f16 v110, v17, s13, v44
	v_mul_f16_e32 v46, 0xb94e, v46
	v_add_f16_e32 v28, v30, v28
	v_fma_f16 v30, v15, s15, -v98
	v_add_f16_e32 v11, v13, v11
	v_fma_f16 v13, v15, s12, -v42
	v_add_f16_e32 v109, v110, v109
	v_fma_f16 v110, v19, s14, v46
	v_mul_f16_e32 v48, 0xb3a8, v48
	v_add_f16_e32 v28, v30, v28
	v_fma_f16 v30, v17, s14, -v99
	v_add_f16_e32 v11, v13, v11
	;; [unrolled: 7-line block ×3, first 2 shown]
	v_fma_f16 v13, v19, s14, -v46
	v_add_f16_e32 v109, v110, v109
	v_fma_f16 v110, v23, s4, -v50
	v_mul_f16_e32 v52, 0xba95, v52
	v_add_f16_e32 v28, v30, v28
	v_fma_f16 v30, v21, s4, -v101
	v_add_f16_e32 v11, v13, v11
	v_fma_f16 v13, v21, s15, -v48
	;; [unrolled: 2-line block ×3, first 2 shown]
	v_mul_f16_e32 v54, 0xbbf1, v54
	v_add_f16_e32 v28, v30, v28
	v_fma_f16 v30, v23, s5, v102
	v_add_f16_e32 v11, v13, v11
	v_fma_f16 v13, v23, s4, v50
	v_add_f16_e32 v110, v111, v110
	v_fma_f16 v111, v27, s12, -v54
	v_mul_f16_e32 v56, 0xbb7b, v56
	v_add_f16_e32 v30, v8, v30
	v_add_f16_e32 v8, v8, v13
	v_fma_f16 v13, v25, s5, v52
	v_add_f16_e32 v110, v111, v110
	v_fma_f16 v111, v31, s13, -v56
	v_mul_f16_e32 v58, 0xb94e, v58
	v_add_f16_e32 v8, v13, v8
	v_fma_f16 v13, v27, s12, v54
	v_add_f16_e32 v110, v111, v110
	v_fma_f16 v111, v36, s14, -v58
	v_mul_f16_e32 v60, 0xb3a8, v60
	v_add_f16_e32 v8, v13, v8
	v_fma_f16 v13, v31, s13, v56
	v_add_f16_e32 v110, v111, v110
	v_fma_f16 v111, v37, s15, -v60
	v_add_f16_e32 v8, v13, v8
	v_fma_f16 v13, v36, s14, v58
	v_add_f16_e32 v110, v111, v110
	v_fma_f16 v41, v25, s13, v104
	;; [unrolled: 2-line block ×4, first 2 shown]
	v_add_f16_e32 v8, v13, v8
	v_pack_b32_f16 v13, v110, v109
	v_pack_b32_f16 v10, v66, v10
	v_add_f16_e32 v30, v41, v30
	v_fma_f16 v41, v31, s14, v106
	ds_write2_b32 v32, v10, v13 offset0:169 offset1:170
	v_pack_b32_f16 v10, v89, v82
	v_pack_b32_f16 v13, v103, v96
	v_add_f16_e32 v30, v41, v30
	v_fma_f16 v41, v36, s12, v107
	ds_write2_b32 v32, v13, v10 offset0:171 offset1:172
	;; [unrolled: 5-line block ×3, first 2 shown]
	v_pack_b32_f16 v10, v39, v35
	v_pack_b32_f16 v9, v29, v9
	v_add_f16_e32 v30, v41, v30
	ds_write2_b32 v32, v9, v10 offset0:175 offset1:176
	v_pack_b32_f16 v9, v16, v14
	v_pack_b32_f16 v10, v18, v24
	ds_write2_b32 v32, v10, v9 offset0:177 offset1:178
	v_pack_b32_f16 v9, v30, v28
	v_pack_b32_f16 v10, v26, v20
	v_pack_b32_f16 v8, v8, v11
	ds_write2_b32 v32, v10, v9 offset0:179 offset1:180
	ds_write_b32 v32, v8 offset:724
.LBB0_21:
	s_or_b64 exec, exec, s[2:3]
	v_add_u16_e32 v8, 26, v6
	s_movk_i32 s0, 0x4f
	v_mul_lo_u16_sdwa v9, v8, s0 dst_sel:DWORD dst_unused:UNUSED_PAD src0_sel:BYTE_0 src1_sel:DWORD
	v_lshrrev_b16_e32 v9, 10, v9
	v_mul_lo_u16_e32 v9, 13, v9
	v_sub_u16_e32 v8, v8, v9
	v_add_u16_e32 v9, 39, v6
	v_mul_lo_u16_sdwa v10, v9, s0 dst_sel:DWORD dst_unused:UNUSED_PAD src0_sel:BYTE_0 src1_sel:DWORD
	v_lshrrev_b16_e32 v10, 10, v10
	v_mul_lo_u16_e32 v10, 13, v10
	v_sub_u16_e32 v9, v9, v10
	v_add_u16_e32 v10, 52, v6
	v_mul_lo_u16_sdwa v11, v10, s0 dst_sel:DWORD dst_unused:UNUSED_PAD src0_sel:BYTE_0 src1_sel:DWORD
	v_lshrrev_b16_e32 v11, 10, v11
	v_mul_lo_u16_e32 v11, 13, v11
	v_sub_u16_e32 v10, v10, v11
	v_mov_b32_e32 v11, 2
	v_lshlrev_b32_sdwa v18, v11, v10 dst_sel:DWORD dst_unused:UNUSED_PAD src0_sel:DWORD src1_sel:BYTE_0
	v_add_u16_e32 v10, 0x41, v6
	v_mul_lo_u16_sdwa v12, v10, s0 dst_sel:DWORD dst_unused:UNUSED_PAD src0_sel:BYTE_0 src1_sel:DWORD
	v_lshrrev_b16_e32 v12, 10, v12
	s_waitcnt lgkmcnt(0)
	; wave barrier
	s_waitcnt lgkmcnt(0)
	global_load_dword v19, v[0:1], off
	v_mul_lo_u16_e32 v0, 13, v12
	v_sub_u16_e32 v0, v10, v0
	v_lshlrev_b32_sdwa v20, v11, v0 dst_sel:DWORD dst_unused:UNUSED_PAD src0_sel:DWORD src1_sel:BYTE_0
	v_add_u16_e32 v0, 0x4e, v6
	v_mul_lo_u16_sdwa v1, v0, s0 dst_sel:DWORD dst_unused:UNUSED_PAD src0_sel:BYTE_0 src1_sel:DWORD
	v_lshrrev_b16_e32 v1, 10, v1
	v_mul_lo_u16_e32 v1, 13, v1
	v_sub_u16_e32 v0, v0, v1
	v_lshlrev_b32_sdwa v21, v11, v0 dst_sel:DWORD dst_unused:UNUSED_PAD src0_sel:DWORD src1_sel:BYTE_0
	global_load_dword v22, v18, s[8:9]
	global_load_dword v23, v20, s[8:9]
	;; [unrolled: 1-line block ×3, first 2 shown]
	v_lshlrev_b32_sdwa v26, v11, v9 dst_sel:DWORD dst_unused:UNUSED_PAD src0_sel:DWORD src1_sel:BYTE_0
	v_lshlrev_b32_sdwa v25, v11, v8 dst_sel:DWORD dst_unused:UNUSED_PAD src0_sel:DWORD src1_sel:BYTE_0
	global_load_dword v27, v26, s[8:9]
	global_load_dword v28, v25, s[8:9]
	ds_read2_b32 v[0:1], v7 offset0:91 offset1:104
	ds_read2_b32 v[8:9], v7 offset0:13 offset1:26
	;; [unrolled: 1-line block ×5, first 2 shown]
	ds_read_b32 v29, v33
	ds_read_b32 v30, v7 offset:676
	ds_read2_b32 v[16:17], v7 offset0:143 offset1:156
	s_mov_b32 s0, 0xffff
	v_add3_u32 v25, 0, v25, v34
	v_add3_u32 v26, 0, v26, v34
	;; [unrolled: 1-line block ×5, first 2 shown]
	s_waitcnt lgkmcnt(0)
	; wave barrier
	s_waitcnt lgkmcnt(0)
	s_movk_i32 s1, 0x3b00
	s_mov_b32 s2, 0xbcab
	s_movk_i32 s3, 0x39e0
	s_mov_b32 s4, 0xb9e0
	s_movk_i32 s5, 0x3574
	s_waitcnt vmcnt(5)
	v_pk_mul_f16 v31, v19, v0 op_sel:[0,1]
	s_nop 0
	v_pk_fma_f16 v35, v19, v0, v31 op_sel:[0,0,1] op_sel_hi:[1,1,0] neg_lo:[0,0,1] neg_hi:[0,0,1]
	v_pk_fma_f16 v0, v19, v0, v31 op_sel:[0,0,1] op_sel_hi:[1,0,0]
	v_pk_mul_f16 v34, v19, v1 op_sel:[0,1]
	v_bfi_b32 v0, s0, v35, v0
	v_pk_fma_f16 v31, v19, v1, v34 op_sel:[0,0,1] op_sel_hi:[1,1,0] neg_lo:[0,0,1] neg_hi:[0,0,1]
	v_pk_fma_f16 v1, v19, v1, v34 op_sel:[0,0,1] op_sel_hi:[1,0,0]
	v_pk_add_f16 v0, v29, v0 neg_lo:[0,1] neg_hi:[0,1]
	v_bfi_b32 v1, s0, v31, v1
	v_pk_fma_f16 v19, v29, 2.0, v0 op_sel_hi:[1,0,1] neg_lo:[0,0,1] neg_hi:[0,0,1]
	s_waitcnt vmcnt(2)
	v_pk_mul_f16 v29, v30, v24 op_sel:[0,1]
	v_pk_mul_f16 v31, v17, v23 op_sel:[0,1]
	;; [unrolled: 1-line block ×3, first 2 shown]
	s_waitcnt vmcnt(1)
	v_pk_mul_f16 v35, v27, v11 op_sel:[0,1]
	s_waitcnt vmcnt(0)
	v_pk_mul_f16 v36, v28, v10 op_sel:[0,1]
	v_pk_fma_f16 v37, v30, v24, v29 op_sel:[0,0,1] op_sel_hi:[1,1,0] neg_lo:[0,0,1] neg_hi:[0,0,1]
	v_pk_fma_f16 v24, v30, v24, v29 op_sel:[0,0,1] op_sel_hi:[1,0,0]
	v_pk_fma_f16 v29, v17, v23, v31 op_sel:[0,0,1] op_sel_hi:[1,1,0] neg_lo:[0,0,1] neg_hi:[0,0,1]
	v_pk_fma_f16 v17, v17, v23, v31 op_sel:[0,0,1] op_sel_hi:[1,0,0]
	v_pk_fma_f16 v23, v16, v22, v34 op_sel:[0,0,1] op_sel_hi:[1,1,0] neg_lo:[0,0,1] neg_hi:[0,0,1]
	v_pk_fma_f16 v16, v16, v22, v34 op_sel:[0,0,1] op_sel_hi:[1,0,0]
	v_pk_fma_f16 v22, v27, v11, v35 op_sel:[0,0,1] op_sel_hi:[1,1,0] neg_lo:[0,0,1] neg_hi:[0,0,1]
	v_pk_fma_f16 v11, v27, v11, v35 op_sel:[0,0,1] op_sel_hi:[1,0,0]
	v_bfi_b32 v16, s0, v23, v16
	v_pk_fma_f16 v23, v28, v10, v36 op_sel:[0,0,1] op_sel_hi:[1,1,0] neg_lo:[0,0,1] neg_hi:[0,0,1]
	v_pk_fma_f16 v10, v28, v10, v36 op_sel:[0,0,1] op_sel_hi:[1,0,0]
	v_bfi_b32 v24, s0, v37, v24
	v_bfi_b32 v17, s0, v29, v17
	;; [unrolled: 1-line block ×4, first 2 shown]
	v_pk_add_f16 v1, v8, v1 neg_lo:[0,1] neg_hi:[0,1]
	v_pk_add_f16 v22, v15, v24 neg_lo:[0,1] neg_hi:[0,1]
	;; [unrolled: 1-line block ×6, first 2 shown]
	v_pk_fma_f16 v8, v8, 2.0, v1 op_sel_hi:[1,0,1] neg_lo:[0,0,1] neg_hi:[0,0,1]
	v_pk_fma_f16 v15, v15, 2.0, v22 op_sel_hi:[1,0,1] neg_lo:[0,0,1] neg_hi:[0,0,1]
	;; [unrolled: 1-line block ×6, first 2 shown]
	ds_write2_b32 v7, v19, v0 offset1:13
	ds_write2_b32 v7, v8, v1 offset0:26 offset1:39
	ds_write2_b32 v25, v9, v10 offset0:52 offset1:65
	;; [unrolled: 1-line block ×6, first 2 shown]
	v_mul_u32_u24_e32 v0, 6, v6
	v_lshlrev_b32_e32 v18, 2, v0
	s_waitcnt lgkmcnt(0)
	; wave barrier
	s_waitcnt lgkmcnt(0)
	global_load_dwordx4 v[8:11], v18, s[8:9] offset:52
	global_load_dwordx2 v[0:1], v18, s[8:9] offset:68
	global_load_dwordx4 v[12:15], v18, s[8:9] offset:364
	global_load_dwordx2 v[16:17], v18, s[8:9] offset:380
	ds_read2_b32 v[18:19], v7 offset0:13 offset1:26
	ds_read2_b32 v[20:21], v7 offset0:39 offset1:52
	;; [unrolled: 1-line block ×6, first 2 shown]
	ds_read_b32 v30, v33
	ds_read_b32 v31, v7 offset:676
	s_waitcnt lgkmcnt(4)
	v_lshrrev_b32_e32 v33, 16, v25
	v_lshrrev_b32_e32 v38, 16, v24
	;; [unrolled: 1-line block ×4, first 2 shown]
	s_waitcnt lgkmcnt(0)
	v_lshrrev_b32_e32 v39, 16, v31
	v_lshrrev_b32_e32 v44, 16, v29
	;; [unrolled: 1-line block ×8, first 2 shown]
	s_movk_i32 s0, 0x2b26
	s_mov_b32 s8, 0xb574
	s_movk_i32 s9, 0x370e
	s_waitcnt lgkmcnt(0)
	; wave barrier
	s_waitcnt vmcnt(3)
	v_mul_f16_sdwa v45, v8, v40 dst_sel:DWORD dst_unused:UNUSED_PAD src0_sel:WORD_1 src1_sel:DWORD
	s_waitcnt vmcnt(2)
	v_mul_f16_sdwa v55, v33, v1 dst_sel:DWORD dst_unused:UNUSED_PAD src0_sel:DWORD src1_sel:WORD_1
	v_mul_f16_sdwa v56, v25, v1 dst_sel:DWORD dst_unused:UNUSED_PAD src0_sel:DWORD src1_sel:WORD_1
	v_fma_f16 v25, v25, v1, -v55
	v_fma_f16 v1, v33, v1, v56
	s_waitcnt vmcnt(0)
	v_mul_f16_sdwa v33, v38, v16 dst_sel:DWORD dst_unused:UNUSED_PAD src0_sel:DWORD src1_sel:WORD_1
	v_fma_f16 v33, v24, v16, -v33
	v_mul_f16_sdwa v24, v24, v16 dst_sel:DWORD dst_unused:UNUSED_PAD src0_sel:DWORD src1_sel:WORD_1
	v_mul_f16_sdwa v46, v8, v19 dst_sel:DWORD dst_unused:UNUSED_PAD src0_sel:WORD_1 src1_sel:DWORD
	v_mul_f16_sdwa v47, v9, v41 dst_sel:DWORD dst_unused:UNUSED_PAD src0_sel:WORD_1 src1_sel:DWORD
	;; [unrolled: 1-line block ×5, first 2 shown]
	v_fma_f16 v16, v38, v16, v24
	v_mul_f16_sdwa v24, v39, v17 dst_sel:DWORD dst_unused:UNUSED_PAD src0_sel:DWORD src1_sel:WORD_1
	v_mul_f16_sdwa v49, v10, v42 dst_sel:DWORD dst_unused:UNUSED_PAD src0_sel:WORD_1 src1_sel:DWORD
	v_mul_f16_sdwa v50, v10, v23 dst_sel:DWORD dst_unused:UNUSED_PAD src0_sel:WORD_1 src1_sel:DWORD
	;; [unrolled: 1-line block ×4, first 2 shown]
	v_mul_f16_sdwa v57, v34, v12 dst_sel:DWORD dst_unused:UNUSED_PAD src0_sel:DWORD src1_sel:WORD_1
	v_mul_f16_sdwa v58, v20, v12 dst_sel:DWORD dst_unused:UNUSED_PAD src0_sel:DWORD src1_sel:WORD_1
	v_fma_f16 v19, v8, v19, -v45
	v_fma_f16 v8, v8, v40, v46
	v_fma_f16 v21, v9, v21, -v47
	v_fma_f16 v9, v9, v41, v48
	;; [unrolled: 2-line block ×3, first 2 shown]
	v_fma_f16 v24, v31, v17, -v24
	v_mul_f16_sdwa v31, v31, v17 dst_sel:DWORD dst_unused:UNUSED_PAD src0_sel:DWORD src1_sel:WORD_1
	v_fma_f16 v23, v10, v23, -v49
	v_fma_f16 v10, v10, v42, v50
	v_fma_f16 v27, v11, v27, -v51
	v_fma_f16 v11, v11, v43, v52
	v_fma_f16 v20, v20, v12, -v57
	v_fma_f16 v12, v34, v12, v58
	v_fma_f16 v17, v39, v17, v31
	v_add_f16_e32 v31, v19, v25
	v_add_f16_e32 v34, v8, v1
	v_sub_f16_e32 v19, v19, v25
	v_sub_f16_e32 v1, v8, v1
	v_add_f16_e32 v8, v21, v29
	v_add_f16_e32 v25, v9, v0
	v_mul_f16_sdwa v59, v35, v13 dst_sel:DWORD dst_unused:UNUSED_PAD src0_sel:DWORD src1_sel:WORD_1
	v_mul_f16_sdwa v60, v22, v13 dst_sel:DWORD dst_unused:UNUSED_PAD src0_sel:DWORD src1_sel:WORD_1
	;; [unrolled: 1-line block ×6, first 2 shown]
	v_sub_f16_e32 v21, v21, v29
	v_sub_f16_e32 v0, v9, v0
	v_add_f16_e32 v9, v23, v27
	v_add_f16_e32 v29, v10, v11
	v_sub_f16_e32 v23, v27, v23
	v_sub_f16_e32 v10, v11, v10
	v_add_f16_e32 v11, v8, v31
	v_add_f16_e32 v27, v25, v34
	v_fma_f16 v22, v22, v13, -v59
	v_fma_f16 v13, v35, v13, v60
	v_fma_f16 v26, v26, v14, -v61
	v_fma_f16 v14, v36, v14, v62
	;; [unrolled: 2-line block ×3, first 2 shown]
	v_sub_f16_e32 v35, v8, v31
	v_sub_f16_e32 v36, v25, v34
	v_sub_f16_e32 v31, v31, v9
	v_sub_f16_e32 v34, v34, v29
	v_sub_f16_e32 v8, v9, v8
	v_sub_f16_e32 v25, v29, v25
	v_add_f16_e32 v37, v23, v21
	v_add_f16_e32 v38, v10, v0
	v_sub_f16_e32 v39, v23, v21
	v_sub_f16_e32 v40, v10, v0
	;; [unrolled: 1-line block ×4, first 2 shown]
	v_add_f16_e32 v9, v9, v11
	v_add_f16_e32 v11, v29, v27
	v_sub_f16_e32 v23, v19, v23
	v_sub_f16_e32 v10, v1, v10
	v_add_f16_e32 v19, v37, v19
	v_add_f16_e32 v1, v38, v1
	;; [unrolled: 1-line block ×3, first 2 shown]
	v_add_f16_sdwa v29, v11, v30 dst_sel:DWORD dst_unused:UNUSED_PAD src0_sel:DWORD src1_sel:WORD_1
	v_mul_f16_e32 v30, 0x3a52, v31
	v_mul_f16_e32 v31, 0x3a52, v34
	;; [unrolled: 1-line block ×8, first 2 shown]
	v_fma_f16 v9, v9, s2, v27
	v_fma_f16 v11, v11, s2, v29
	;; [unrolled: 1-line block ×4, first 2 shown]
	v_fma_f16 v34, v35, s3, -v34
	v_fma_f16 v37, v36, s3, -v37
	;; [unrolled: 1-line block ×4, first 2 shown]
	v_fma_f16 v35, v23, s5, v38
	v_fma_f16 v36, v10, s5, v39
	v_fma_f16 v21, v21, s1, -v38
	v_fma_f16 v0, v0, s1, -v39
	;; [unrolled: 1-line block ×4, first 2 shown]
	v_add_f16_e32 v8, v8, v9
	v_add_f16_e32 v25, v25, v11
	v_add_f16_e32 v34, v34, v9
	v_add_f16_e32 v37, v37, v11
	v_add_f16_e32 v9, v30, v9
	v_add_f16_e32 v11, v31, v11
	v_fma_f16 v30, v19, s9, v35
	v_fma_f16 v31, v1, s9, v36
	;; [unrolled: 1-line block ×6, first 2 shown]
	v_sub_f16_e32 v23, v25, v30
	v_add_f16_e32 v35, v1, v9
	v_sub_f16_e32 v36, v11, v19
	v_sub_f16_e32 v1, v9, v1
	v_add_f16_e32 v9, v19, v11
	v_add_f16_e32 v11, v30, v25
	v_add_f16_e32 v19, v20, v24
	v_add_f16_e32 v25, v12, v17
	v_sub_f16_e32 v20, v20, v24
	v_sub_f16_e32 v12, v12, v17
	v_add_f16_e32 v17, v22, v33
	v_add_f16_e32 v24, v13, v16
	v_sub_f16_e32 v22, v22, v33
	v_sub_f16_e32 v13, v13, v16
	v_add_f16_e32 v16, v26, v28
	v_add_f16_e32 v30, v14, v15
	;; [unrolled: 4-line block ×3, first 2 shown]
	v_add_f16_e32 v10, v31, v8
	v_sub_f16_e32 v38, v34, v0
	v_add_f16_e32 v39, v21, v37
	v_add_f16_e32 v0, v0, v34
	v_sub_f16_e32 v21, v37, v21
	v_sub_f16_e32 v8, v8, v31
	v_sub_f16_e32 v31, v17, v19
	v_sub_f16_e32 v33, v24, v25
	v_sub_f16_e32 v19, v19, v16
	v_sub_f16_e32 v25, v25, v30
	v_sub_f16_e32 v17, v16, v17
	v_sub_f16_e32 v24, v30, v24
	v_add_f16_e32 v34, v26, v22
	v_add_f16_e32 v37, v14, v13
	v_sub_f16_e32 v40, v26, v22
	v_sub_f16_e32 v41, v14, v13
	;; [unrolled: 1-line block ×4, first 2 shown]
	v_add_f16_e32 v15, v16, v15
	v_add_f16_e32 v16, v30, v28
	v_sub_f16_e32 v26, v20, v26
	v_sub_f16_e32 v14, v12, v14
	v_add_f16_e32 v20, v34, v20
	v_add_f16_e32 v12, v37, v12
	;; [unrolled: 1-line block ×3, first 2 shown]
	v_add_f16_sdwa v18, v16, v18 dst_sel:DWORD dst_unused:UNUSED_PAD src0_sel:DWORD src1_sel:WORD_1
	v_mul_f16_e32 v19, 0x3a52, v19
	v_mul_f16_e32 v25, 0x3a52, v25
	;; [unrolled: 1-line block ×8, first 2 shown]
	v_fma_f16 v15, v15, s2, v28
	v_fma_f16 v16, v16, s2, v18
	;; [unrolled: 1-line block ×4, first 2 shown]
	v_fma_f16 v30, v31, s3, -v30
	v_fma_f16 v34, v33, s3, -v34
	;; [unrolled: 1-line block ×4, first 2 shown]
	v_fma_f16 v31, v26, s5, v37
	v_fma_f16 v33, v14, s5, v40
	v_fma_f16 v22, v22, s1, -v37
	v_fma_f16 v13, v13, s1, -v40
	;; [unrolled: 1-line block ×4, first 2 shown]
	v_add_f16_e32 v17, v17, v15
	v_add_f16_e32 v24, v24, v16
	;; [unrolled: 1-line block ×6, first 2 shown]
	v_fma_f16 v19, v20, s9, v31
	v_fma_f16 v25, v12, s9, v33
	v_fma_f16 v22, v20, s9, v22
	v_fma_f16 v13, v12, s9, v13
	v_fma_f16 v20, v20, s9, v26
	v_fma_f16 v12, v12, s9, v14
	v_add_f16_e32 v14, v25, v17
	v_sub_f16_e32 v26, v24, v19
	v_add_f16_e32 v31, v12, v15
	v_sub_f16_e32 v33, v16, v20
	v_sub_f16_e32 v12, v15, v12
	v_add_f16_e32 v15, v20, v16
	v_sub_f16_e32 v16, v17, v25
	v_add_f16_e32 v17, v19, v24
	v_pack_b32_f16 v19, v27, v29
	v_pack_b32_f16 v1, v1, v9
	;; [unrolled: 1-line block ×4, first 2 shown]
	ds_write2_b32 v7, v19, v9 offset1:13
	v_pack_b32_f16 v9, v14, v26
	v_sub_f16_e32 v37, v30, v13
	v_add_f16_e32 v40, v22, v34
	v_pack_b32_f16 v20, v35, v36
	ds_write2_b32 v7, v10, v9 offset0:26 offset1:39
	v_pack_b32_f16 v9, v31, v33
	v_add_f16_e32 v13, v13, v30
	v_sub_f16_e32 v22, v34, v22
	v_pack_b32_f16 v23, v38, v39
	ds_write2_b32 v7, v20, v9 offset0:52 offset1:65
	v_pack_b32_f16 v9, v37, v40
	v_pack_b32_f16 v0, v0, v21
	ds_write2_b32 v7, v23, v9 offset0:78 offset1:91
	v_pack_b32_f16 v9, v13, v22
	ds_write2_b32 v7, v0, v9 offset0:104 offset1:117
	v_pack_b32_f16 v0, v12, v15
	v_pack_b32_f16 v8, v8, v11
	ds_write2_b32 v7, v1, v0 offset0:130 offset1:143
	v_pack_b32_f16 v0, v16, v17
	ds_write2_b32 v7, v8, v0 offset0:156 offset1:169
	s_waitcnt lgkmcnt(0)
	; wave barrier
	s_waitcnt lgkmcnt(0)
	s_and_saveexec_b64 s[0:1], vcc
	s_cbranch_execz .LBB0_23
; %bb.22:
	v_mul_lo_u32 v7, s11, v4
	v_mul_lo_u32 v5, s10, v5
	v_mad_u64_u32 v[0:1], s[0:1], s10, v4, 0
	v_lshl_add_u32 v10, v6, 2, v32
	v_add3_u32 v1, v1, v5, v7
	ds_read2_b32 v[4:5], v10 offset1:13
	v_lshl_add_u64 v[0:1], v[0:1], 2, s[6:7]
	v_mov_b32_e32 v7, 0
	v_lshl_add_u64 v[0:1], v[2:3], 2, v[0:1]
	v_lshl_add_u64 v[2:3], v[6:7], 2, v[0:1]
	ds_read2_b32 v[8:9], v10 offset0:26 offset1:39
	s_waitcnt lgkmcnt(1)
	global_store_dword v[2:3], v4, off
	v_add_u32_e32 v2, 13, v6
	v_mov_b32_e32 v3, v7
	v_lshl_add_u64 v[2:3], v[2:3], 2, v[0:1]
	global_store_dword v[2:3], v5, off
	v_add_u32_e32 v2, 26, v6
	v_mov_b32_e32 v3, v7
	v_lshl_add_u64 v[2:3], v[2:3], 2, v[0:1]
	ds_read2_b32 v[4:5], v10 offset0:52 offset1:65
	s_waitcnt lgkmcnt(1)
	global_store_dword v[2:3], v8, off
	v_add_u32_e32 v2, 39, v6
	v_mov_b32_e32 v3, v7
	v_lshl_add_u64 v[2:3], v[2:3], 2, v[0:1]
	global_store_dword v[2:3], v9, off
	v_add_u32_e32 v2, 52, v6
	v_mov_b32_e32 v3, v7
	;; [unrolled: 10-line block ×6, first 2 shown]
	v_add_u32_e32 v6, 0xa9, v6
	v_lshl_add_u64 v[2:3], v[2:3], 2, v[0:1]
	v_lshl_add_u64 v[0:1], v[6:7], 2, v[0:1]
	s_waitcnt lgkmcnt(0)
	global_store_dword v[2:3], v4, off
	global_store_dword v[0:1], v5, off
.LBB0_23:
	s_endpgm
	.section	.rodata,"a",@progbits
	.p2align	6, 0x0
	.amdhsa_kernel fft_rtc_fwd_len182_factors_13_2_7_wgs_52_tpt_13_half_op_CI_CI_unitstride_sbrr_C2R_dirReg
		.amdhsa_group_segment_fixed_size 0
		.amdhsa_private_segment_fixed_size 0
		.amdhsa_kernarg_size 104
		.amdhsa_user_sgpr_count 2
		.amdhsa_user_sgpr_dispatch_ptr 0
		.amdhsa_user_sgpr_queue_ptr 0
		.amdhsa_user_sgpr_kernarg_segment_ptr 1
		.amdhsa_user_sgpr_dispatch_id 0
		.amdhsa_user_sgpr_kernarg_preload_length 0
		.amdhsa_user_sgpr_kernarg_preload_offset 0
		.amdhsa_user_sgpr_private_segment_size 0
		.amdhsa_uses_dynamic_stack 0
		.amdhsa_enable_private_segment 0
		.amdhsa_system_sgpr_workgroup_id_x 1
		.amdhsa_system_sgpr_workgroup_id_y 0
		.amdhsa_system_sgpr_workgroup_id_z 0
		.amdhsa_system_sgpr_workgroup_info 0
		.amdhsa_system_vgpr_workitem_id 0
		.amdhsa_next_free_vgpr 112
		.amdhsa_next_free_sgpr 28
		.amdhsa_accum_offset 112
		.amdhsa_reserve_vcc 1
		.amdhsa_float_round_mode_32 0
		.amdhsa_float_round_mode_16_64 0
		.amdhsa_float_denorm_mode_32 3
		.amdhsa_float_denorm_mode_16_64 3
		.amdhsa_dx10_clamp 1
		.amdhsa_ieee_mode 1
		.amdhsa_fp16_overflow 0
		.amdhsa_tg_split 0
		.amdhsa_exception_fp_ieee_invalid_op 0
		.amdhsa_exception_fp_denorm_src 0
		.amdhsa_exception_fp_ieee_div_zero 0
		.amdhsa_exception_fp_ieee_overflow 0
		.amdhsa_exception_fp_ieee_underflow 0
		.amdhsa_exception_fp_ieee_inexact 0
		.amdhsa_exception_int_div_zero 0
	.end_amdhsa_kernel
	.text
.Lfunc_end0:
	.size	fft_rtc_fwd_len182_factors_13_2_7_wgs_52_tpt_13_half_op_CI_CI_unitstride_sbrr_C2R_dirReg, .Lfunc_end0-fft_rtc_fwd_len182_factors_13_2_7_wgs_52_tpt_13_half_op_CI_CI_unitstride_sbrr_C2R_dirReg
                                        ; -- End function
	.section	.AMDGPU.csdata,"",@progbits
; Kernel info:
; codeLenInByte = 11656
; NumSgprs: 34
; NumVgprs: 112
; NumAgprs: 0
; TotalNumVgprs: 112
; ScratchSize: 0
; MemoryBound: 0
; FloatMode: 240
; IeeeMode: 1
; LDSByteSize: 0 bytes/workgroup (compile time only)
; SGPRBlocks: 4
; VGPRBlocks: 13
; NumSGPRsForWavesPerEU: 34
; NumVGPRsForWavesPerEU: 112
; AccumOffset: 112
; Occupancy: 4
; WaveLimiterHint : 1
; COMPUTE_PGM_RSRC2:SCRATCH_EN: 0
; COMPUTE_PGM_RSRC2:USER_SGPR: 2
; COMPUTE_PGM_RSRC2:TRAP_HANDLER: 0
; COMPUTE_PGM_RSRC2:TGID_X_EN: 1
; COMPUTE_PGM_RSRC2:TGID_Y_EN: 0
; COMPUTE_PGM_RSRC2:TGID_Z_EN: 0
; COMPUTE_PGM_RSRC2:TIDIG_COMP_CNT: 0
; COMPUTE_PGM_RSRC3_GFX90A:ACCUM_OFFSET: 27
; COMPUTE_PGM_RSRC3_GFX90A:TG_SPLIT: 0
	.text
	.p2alignl 6, 3212836864
	.fill 256, 4, 3212836864
	.type	__hip_cuid_1f6fee844d845a58,@object ; @__hip_cuid_1f6fee844d845a58
	.section	.bss,"aw",@nobits
	.globl	__hip_cuid_1f6fee844d845a58
__hip_cuid_1f6fee844d845a58:
	.byte	0                               ; 0x0
	.size	__hip_cuid_1f6fee844d845a58, 1

	.ident	"AMD clang version 19.0.0git (https://github.com/RadeonOpenCompute/llvm-project roc-6.4.0 25133 c7fe45cf4b819c5991fe208aaa96edf142730f1d)"
	.section	".note.GNU-stack","",@progbits
	.addrsig
	.addrsig_sym __hip_cuid_1f6fee844d845a58
	.amdgpu_metadata
---
amdhsa.kernels:
  - .agpr_count:     0
    .args:
      - .actual_access:  read_only
        .address_space:  global
        .offset:         0
        .size:           8
        .value_kind:     global_buffer
      - .offset:         8
        .size:           8
        .value_kind:     by_value
      - .actual_access:  read_only
        .address_space:  global
        .offset:         16
        .size:           8
        .value_kind:     global_buffer
      - .actual_access:  read_only
        .address_space:  global
        .offset:         24
        .size:           8
        .value_kind:     global_buffer
      - .actual_access:  read_only
        .address_space:  global
        .offset:         32
        .size:           8
        .value_kind:     global_buffer
      - .offset:         40
        .size:           8
        .value_kind:     by_value
      - .actual_access:  read_only
        .address_space:  global
        .offset:         48
        .size:           8
        .value_kind:     global_buffer
      - .actual_access:  read_only
        .address_space:  global
        .offset:         56
        .size:           8
        .value_kind:     global_buffer
      - .offset:         64
        .size:           4
        .value_kind:     by_value
      - .actual_access:  read_only
        .address_space:  global
        .offset:         72
        .size:           8
        .value_kind:     global_buffer
      - .actual_access:  read_only
        .address_space:  global
        .offset:         80
        .size:           8
        .value_kind:     global_buffer
      - .actual_access:  read_only
        .address_space:  global
        .offset:         88
        .size:           8
        .value_kind:     global_buffer
      - .actual_access:  write_only
        .address_space:  global
        .offset:         96
        .size:           8
        .value_kind:     global_buffer
    .group_segment_fixed_size: 0
    .kernarg_segment_align: 8
    .kernarg_segment_size: 104
    .language:       OpenCL C
    .language_version:
      - 2
      - 0
    .max_flat_workgroup_size: 52
    .name:           fft_rtc_fwd_len182_factors_13_2_7_wgs_52_tpt_13_half_op_CI_CI_unitstride_sbrr_C2R_dirReg
    .private_segment_fixed_size: 0
    .sgpr_count:     34
    .sgpr_spill_count: 0
    .symbol:         fft_rtc_fwd_len182_factors_13_2_7_wgs_52_tpt_13_half_op_CI_CI_unitstride_sbrr_C2R_dirReg.kd
    .uniform_work_group_size: 1
    .uses_dynamic_stack: false
    .vgpr_count:     112
    .vgpr_spill_count: 0
    .wavefront_size: 64
amdhsa.target:   amdgcn-amd-amdhsa--gfx950
amdhsa.version:
  - 1
  - 2
...

	.end_amdgpu_metadata
